;; amdgpu-corpus repo=ROCm/aiter kind=harvested arch=n/a opt=n/a

/root/src/amdgpu-assembly/repos/ROCm__aiter/hsa/gfx942/fmoe_2stages/fmoe_stage1_bf16_pertokenFp8_blockscale_g1u1_160x128_pf3.co:	file format elf64-amdgpu

Disassembly of section .text:

0000000000002a00 <_ZN5aiter56fmoe_stage1_bf16_pertokenFp8_blockscale_g1u1_160x128_pf3E>:
	s_and_b32 s1, s1, 0xffff                                   // 000000002A00: 8601FF01 0000FFFF
	s_load_dwordx2 s[8:9], s[0:1], 0x0                         // 000000002A08: C0060200 00000000
	s_load_dwordx2 s[20:21], s[0:1], 0x10                      // 000000002A10: C0060500 00000010
	s_load_dwordx2 s[24:25], s[0:1], 0x20                      // 000000002A18: C0060600 00000020
	s_load_dwordx2 s[48:49], s[0:1], 0x30                      // 000000002A20: C0060C00 00000030
	s_load_dwordx2 s[28:29], s[0:1], 0x40                      // 000000002A28: C0060700 00000040
	s_load_dwordx2 s[32:33], s[0:1], 0x50                      // 000000002A30: C0060800 00000050
	s_load_dwordx2 s[36:37], s[0:1], 0x60                      // 000000002A38: C0060900 00000060
	s_load_dwordx2 s[12:13], s[0:1], 0x70                      // 000000002A40: C0060300 00000070
	s_load_dwordx2 s[44:45], s[0:1], 0x80                      // 000000002A48: C0060B00 00000080
	s_mov_b32 s89, 0                                           // 000000002A50: BED90080
	s_load_dword s64, s[0:1], 0x90                             // 000000002A54: C0021000 00000090
	s_load_dword s65, s[0:1], 0xa0                             // 000000002A5C: C0021040 000000A0
	s_load_dword s66, s[0:1], 0xb0                             // 000000002A64: C0021080 000000B0
	s_load_dword s67, s[0:1], 0xc0                             // 000000002A6C: C00210C0 000000C0
	s_load_dword s68, s[0:1], 0xd0                             // 000000002A74: C0021100 000000D0
	s_load_dword s69, s[0:1], 0xe0                             // 000000002A7C: C0021140 000000E0
	s_load_dword s71, s[0:1], 0xf0                             // 000000002A84: C00211C0 000000F0
	s_load_dword s72, s[0:1], 0x100                            // 000000002A8C: C0021200 00000100
	s_load_dword s74, s[0:1], 0x110                            // 000000002A94: C0021280 00000110
	s_load_dword s76, s[0:1], 0x120                            // 000000002A9C: C0021300 00000120
	s_load_dword s56, s[0:1], 0x130                            // 000000002AA4: C0020E00 00000130
	s_load_dword s88, s[0:1], 0x140                            // 000000002AAC: C0021600 00000140
	s_load_dword s89, s[0:1], 0x150                            // 000000002AB4: C0021640 00000150
	v_lshrrev_b32_e32 v1, 10, v0                               // 000000002ABC: 2002008A
	v_lshrrev_b32_e32 v2, 10, v1                               // 000000002AC0: 2004028A
	v_and_b32_e32 v2, 0x3ff, v2                                // 000000002AC4: 260404FF 000003FF
	v_and_b32_e32 v1, 0x3ff, v1                                // 000000002ACC: 260202FF 000003FF
	v_and_b32_e32 v0, 0x3ff, v0                                // 000000002AD4: 260000FF 000003FF
	v_lshrrev_b32_e32 v3, 6, v0                                // 000000002ADC: 20060086
	v_and_b32_e32 v0, 63, v0                                   // 000000002AE0: 260000BF
	s_mov_b32 s2, s2                                           // 000000002AE4: BE820002
	s_mov_b32 s3, s3                                           // 000000002AE8: BE830003
	s_mov_b32 s4, s4                                           // 000000002AEC: BE840004
	v_readfirstlane_b32 s7, v3                                 // 000000002AF0: 7E0E0503
	s_waitcnt lgkmcnt(0)                                       // 000000002AF4: BF8CC07F
	s_and_b32 s49, s49, 0xffff                                 // 000000002AF8: 8631FF31 0000FFFF
	s_load_dword s48, s[48:49], 0x0                            // 000000002B00: C0020C18 00000000
	s_and_b32 s45, s45, 0xffff                                 // 000000002B08: 862DFF2D 0000FFFF
	s_and_b32 s9, s9, 0xffff                                   // 000000002B10: 8609FF09 0000FFFF
	s_mul_i32 s60, s66, s68                                    // 000000002B18: 923C4442
	s_mul_i32 s61, s66, 4                                      // 000000002B1C: 923D8442
	s_mov_b32 s22, s60                                         // 000000002B20: BE96003C
	s_mov_b32 s26, -16                                         // 000000002B24: BE9A00D0
	s_mov_b32 s30, s61                                         // 000000002B28: BE9E003D
	s_mov_b32 s14, 0x280                                       // 000000002B2C: BE8E00FF 00000280
	s_mov_b32 s38, -16                                         // 000000002B34: BEA600D0
	s_mov_b32 s10, -16                                         // 000000002B38: BE8A00D0
	s_lshr_b32 s60, s64, 7                                     // 000000002B3C: 8F3C8740
	s_mul_i32 s61, s60, 4                                      // 000000002B40: 923D843C
	s_lshr_b32 s60, s65, 7                                     // 000000002B44: 8F3C8741
	s_add_u32 s60, s60, 1                                      // 000000002B48: 803C813C
	s_mul_i32 s60, s60, s61                                    // 000000002B4C: 923C3D3C
	s_mov_b32 s34, s60                                         // 000000002B50: BEA2003C
	s_mov_b32 s23, 0x20000                                     // 000000002B54: BE9700FF 00020000
	s_mov_b32 s27, 0x20000                                     // 000000002B5C: BE9B00FF 00020000
	s_mov_b32 s31, 0x20000                                     // 000000002B64: BE9F00FF 00020000
	s_mov_b32 s35, 0x20000                                     // 000000002B6C: BEA300FF 00020000
	s_mov_b32 s15, 0x20000                                     // 000000002B74: BE8F00FF 00020000
	s_mov_b32 s39, 0x20000                                     // 000000002B7C: BEA700FF 00020000
	s_mov_b32 s11, 0x20000                                     // 000000002B84: BE8B00FF 00020000
	s_and_b32 s21, s21, 0xffff                                 // 000000002B8C: 8615FF15 0000FFFF
	s_and_b32 s25, s25, 0xffff                                 // 000000002B94: 8619FF19 0000FFFF
	s_and_b32 s29, s29, 0xffff                                 // 000000002B9C: 861DFF1D 0000FFFF
	s_and_b32 s33, s33, 0xffff                                 // 000000002BA4: 8621FF21 0000FFFF
	s_and_b32 s13, s13, 0xffff                                 // 000000002BAC: 860DFF0D 0000FFFF
	s_and_b32 s37, s37, 0xffff                                 // 000000002BB4: 8625FF25 0000FFFF
	s_or_b32 s21, s21, 0x40000                                 // 000000002BBC: 8715FF15 00040000
	s_or_b32 s25, s25, 0x40000                                 // 000000002BC4: 8719FF19 00040000
	s_or_b32 s29, s29, 0x40000                                 // 000000002BCC: 871DFF1D 00040000
	s_or_b32 s33, s33, 0x40000                                 // 000000002BD4: 8721FF21 00040000
	s_or_b32 s13, s13, 0x40000                                 // 000000002BDC: 870DFF0D 00040000
	s_or_b32 s37, s37, 0x40000                                 // 000000002BE4: 8725FF25 00040000
	v_accvgpr_write_b32 a207, 0                                // 000000002BEC: D3D940CF 18000080
	v_mov_b32_e32 v251, 0                                      // 000000002BF4: 7FF60280
	s_waitcnt lgkmcnt(0)                                       // 000000002BF8: BF8CC07F
	s_mul_i32 s60, s3, 0xa0                                    // 000000002BFC: 923CFF03 000000A0
	s_cmp_lt_i32 s60, s48                                      // 000000002C04: BF04303C
	s_cbranch_scc0 label_5BB8                                  // 000000002C08: BF845B32
	s_mov_b32 s80, 0                                           // 000000002C0C: BED00080
	s_lshr_b32 s81, s64, s88                                   // 000000002C10: 8F515840
	s_mul_i32 s60, s3, 4                                       // 000000002C14: 923C8403
	s_add_u32 s44, s60, s44                                    // 000000002C18: 802C2C3C
	s_addc_u32 s45, 0, s45                                     // 000000002C1C: 822D2D80
	s_load_dword s5, s[44:45], 0x0                             // 000000002C20: C0020156 00000000
	s_mul_i32 s60, s3, 0xa0                                    // 000000002C28: 923CFF03 000000A0
	s_mul_i32 s60, 4, s60                                      // 000000002C30: 923C3C84
	s_add_u32 s12, s60, s12                                    // 000000002C34: 800C0C3C
	s_addc_u32 s13, 0, s13                                     // 000000002C38: 820D0D80
	v_and_b32_e32 v4, 15, v0                                   // 000000002C3C: 2608008F
	v_lshlrev_b32_e32 v4, 2, v4                                // 000000002C40: 24080882
	buffer_load_dword v30, v4, s[12:15], 0 offen               // 000000002C44: E0501000 80031E04
	v_add_u32_e32 v4, 64, v4                                   // 000000002C4C: 680808C0
	buffer_load_dword v31, v4, s[12:15], 0 offen               // 000000002C50: E0501000 80031F04
	v_add_u32_e32 v4, 64, v4                                   // 000000002C58: 680808C0
	buffer_load_dword v32, v4, s[12:15], 0 offen               // 000000002C5C: E0501000 80032004
	v_add_u32_e32 v4, 64, v4                                   // 000000002C64: 680808C0
	buffer_load_dword v33, v4, s[12:15], 0 offen               // 000000002C68: E0501000 80032104
	v_add_u32_e32 v4, 64, v4                                   // 000000002C70: 680808C0
	buffer_load_dword v34, v4, s[12:15], 0 offen               // 000000002C74: E0501000 80032204
	v_add_u32_e32 v4, 64, v4                                   // 000000002C7C: 680808C0
	buffer_load_dword v35, v4, s[12:15], 0 offen               // 000000002C80: E0501000 80032304
	v_add_u32_e32 v4, 64, v4                                   // 000000002C88: 680808C0
	buffer_load_dword v36, v4, s[12:15], 0 offen               // 000000002C8C: E0501000 80032404
	v_add_u32_e32 v4, 64, v4                                   // 000000002C94: 680808C0
	buffer_load_dword v37, v4, s[12:15], 0 offen               // 000000002C98: E0501000 80032504
	v_add_u32_e32 v4, 64, v4                                   // 000000002CA0: 680808C0
	buffer_load_dword v38, v4, s[12:15], 0 offen               // 000000002CA4: E0501000 80032604
	v_add_u32_e32 v4, 64, v4                                   // 000000002CAC: 680808C0
	buffer_load_dword v39, v4, s[12:15], 0 offen               // 000000002CB0: E0501000 80032704
	v_add_u32_e32 v4, 64, v4                                   // 000000002CB8: 680808C0
	s_mul_i32 s60, 4, s7                                       // 000000002CBC: 923C0784
	v_lshlrev_b32_e32 v4, 4, v0                                // 000000002CC0: 24080084
	v_add_u32_e32 v4, s60, v4                                  // 000000002CC4: 6808083C
	buffer_load_dword v3, v4, s[12:15], 0 offen                // 000000002CC8: E0501000 80030304
	v_mov_b32_e32 v92, 0                                       // 000000002CD0: 7EB80280
	v_mov_b32_e32 v172, 0                                      // 000000002CD4: 7F580280
	v_mov_b32_e32 v93, 0                                       // 000000002CD8: 7EBA0280
	v_mov_b32_e32 v173, 0                                      // 000000002CDC: 7F5A0280
	v_mov_b32_e32 v94, 0                                       // 000000002CE0: 7EBC0280
	v_mov_b32_e32 v174, 0                                      // 000000002CE4: 7F5C0280
	v_mov_b32_e32 v95, 0                                       // 000000002CE8: 7EBE0280
	v_mov_b32_e32 v175, 0                                      // 000000002CEC: 7F5E0280
	v_mov_b32_e32 v96, 0                                       // 000000002CF0: 7EC00280
	v_mov_b32_e32 v176, 0                                      // 000000002CF4: 7F600280
	v_mov_b32_e32 v97, 0                                       // 000000002CF8: 7EC20280
	v_mov_b32_e32 v177, 0                                      // 000000002CFC: 7F620280
	v_mov_b32_e32 v98, 0                                       // 000000002D00: 7EC40280
	v_mov_b32_e32 v178, 0                                      // 000000002D04: 7F640280
	v_mov_b32_e32 v99, 0                                       // 000000002D08: 7EC60280
	v_mov_b32_e32 v179, 0                                      // 000000002D0C: 7F660280
	v_mov_b32_e32 v100, 0                                      // 000000002D10: 7EC80280
	v_mov_b32_e32 v180, 0                                      // 000000002D14: 7F680280
	v_mov_b32_e32 v101, 0                                      // 000000002D18: 7ECA0280
	v_mov_b32_e32 v181, 0                                      // 000000002D1C: 7F6A0280
	v_mov_b32_e32 v102, 0                                      // 000000002D20: 7ECC0280
	v_mov_b32_e32 v182, 0                                      // 000000002D24: 7F6C0280
	v_mov_b32_e32 v103, 0                                      // 000000002D28: 7ECE0280
	v_mov_b32_e32 v183, 0                                      // 000000002D2C: 7F6E0280
	v_mov_b32_e32 v104, 0                                      // 000000002D30: 7ED00280
	v_mov_b32_e32 v184, 0                                      // 000000002D34: 7F700280
	v_mov_b32_e32 v105, 0                                      // 000000002D38: 7ED20280
	v_mov_b32_e32 v185, 0                                      // 000000002D3C: 7F720280
	v_mov_b32_e32 v106, 0                                      // 000000002D40: 7ED40280
	v_mov_b32_e32 v186, 0                                      // 000000002D44: 7F740280
	v_mov_b32_e32 v107, 0                                      // 000000002D48: 7ED60280
	v_mov_b32_e32 v187, 0                                      // 000000002D4C: 7F760280
	v_mov_b32_e32 v108, 0                                      // 000000002D50: 7ED80280
	v_mov_b32_e32 v188, 0                                      // 000000002D54: 7F780280
	v_mov_b32_e32 v109, 0                                      // 000000002D58: 7EDA0280
	v_mov_b32_e32 v189, 0                                      // 000000002D5C: 7F7A0280
	v_mov_b32_e32 v110, 0                                      // 000000002D60: 7EDC0280
	v_mov_b32_e32 v190, 0                                      // 000000002D64: 7F7C0280
	v_mov_b32_e32 v111, 0                                      // 000000002D68: 7EDE0280
	v_mov_b32_e32 v191, 0                                      // 000000002D6C: 7F7E0280
	v_mov_b32_e32 v112, 0                                      // 000000002D70: 7EE00280
	v_mov_b32_e32 v192, 0                                      // 000000002D74: 7F800280
	v_mov_b32_e32 v113, 0                                      // 000000002D78: 7EE20280
	v_mov_b32_e32 v193, 0                                      // 000000002D7C: 7F820280
	v_mov_b32_e32 v114, 0                                      // 000000002D80: 7EE40280
	v_mov_b32_e32 v194, 0                                      // 000000002D84: 7F840280
	v_mov_b32_e32 v115, 0                                      // 000000002D88: 7EE60280
	v_mov_b32_e32 v195, 0                                      // 000000002D8C: 7F860280
	v_mov_b32_e32 v116, 0                                      // 000000002D90: 7EE80280
	v_mov_b32_e32 v196, 0                                      // 000000002D94: 7F880280
	v_mov_b32_e32 v117, 0                                      // 000000002D98: 7EEA0280
	v_mov_b32_e32 v197, 0                                      // 000000002D9C: 7F8A0280
	v_mov_b32_e32 v118, 0                                      // 000000002DA0: 7EEC0280
	v_mov_b32_e32 v198, 0                                      // 000000002DA4: 7F8C0280
	v_mov_b32_e32 v119, 0                                      // 000000002DA8: 7EEE0280
	v_mov_b32_e32 v199, 0                                      // 000000002DAC: 7F8E0280
	v_mov_b32_e32 v120, 0                                      // 000000002DB0: 7EF00280
	v_mov_b32_e32 v200, 0                                      // 000000002DB4: 7F900280
	v_mov_b32_e32 v121, 0                                      // 000000002DB8: 7EF20280
	v_mov_b32_e32 v201, 0                                      // 000000002DBC: 7F920280
	v_mov_b32_e32 v122, 0                                      // 000000002DC0: 7EF40280
	v_mov_b32_e32 v202, 0                                      // 000000002DC4: 7F940280
	v_mov_b32_e32 v123, 0                                      // 000000002DC8: 7EF60280
	v_mov_b32_e32 v203, 0                                      // 000000002DCC: 7F960280
	v_mov_b32_e32 v124, 0                                      // 000000002DD0: 7EF80280
	v_mov_b32_e32 v204, 0                                      // 000000002DD4: 7F980280
	v_mov_b32_e32 v125, 0                                      // 000000002DD8: 7EFA0280
	v_mov_b32_e32 v205, 0                                      // 000000002DDC: 7F9A0280
	v_mov_b32_e32 v126, 0                                      // 000000002DE0: 7EFC0280
	v_mov_b32_e32 v206, 0                                      // 000000002DE4: 7F9C0280
	v_mov_b32_e32 v127, 0                                      // 000000002DE8: 7EFE0280
	v_mov_b32_e32 v207, 0                                      // 000000002DEC: 7F9E0280
	v_mov_b32_e32 v128, 0                                      // 000000002DF0: 7F000280
	v_mov_b32_e32 v208, 0                                      // 000000002DF4: 7FA00280
	v_mov_b32_e32 v129, 0                                      // 000000002DF8: 7F020280
	v_mov_b32_e32 v209, 0                                      // 000000002DFC: 7FA20280
	v_mov_b32_e32 v130, 0                                      // 000000002E00: 7F040280
	v_mov_b32_e32 v210, 0                                      // 000000002E04: 7FA40280
	v_mov_b32_e32 v131, 0                                      // 000000002E08: 7F060280
	v_mov_b32_e32 v211, 0                                      // 000000002E0C: 7FA60280
	v_mov_b32_e32 v132, 0                                      // 000000002E10: 7F080280
	v_mov_b32_e32 v212, 0                                      // 000000002E14: 7FA80280
	v_mov_b32_e32 v133, 0                                      // 000000002E18: 7F0A0280
	v_mov_b32_e32 v213, 0                                      // 000000002E1C: 7FAA0280
	v_mov_b32_e32 v134, 0                                      // 000000002E20: 7F0C0280
	v_mov_b32_e32 v214, 0                                      // 000000002E24: 7FAC0280
	v_mov_b32_e32 v135, 0                                      // 000000002E28: 7F0E0280
	v_mov_b32_e32 v215, 0                                      // 000000002E2C: 7FAE0280
	v_mov_b32_e32 v136, 0                                      // 000000002E30: 7F100280
	v_mov_b32_e32 v216, 0                                      // 000000002E34: 7FB00280
	v_mov_b32_e32 v137, 0                                      // 000000002E38: 7F120280
	v_mov_b32_e32 v217, 0                                      // 000000002E3C: 7FB20280
	v_mov_b32_e32 v138, 0                                      // 000000002E40: 7F140280
	v_mov_b32_e32 v218, 0                                      // 000000002E44: 7FB40280
	v_mov_b32_e32 v139, 0                                      // 000000002E48: 7F160280
	v_mov_b32_e32 v219, 0                                      // 000000002E4C: 7FB60280
	v_mov_b32_e32 v140, 0                                      // 000000002E50: 7F180280
	v_mov_b32_e32 v220, 0                                      // 000000002E54: 7FB80280
	v_mov_b32_e32 v141, 0                                      // 000000002E58: 7F1A0280
	v_mov_b32_e32 v221, 0                                      // 000000002E5C: 7FBA0280
	v_mov_b32_e32 v142, 0                                      // 000000002E60: 7F1C0280
	v_mov_b32_e32 v222, 0                                      // 000000002E64: 7FBC0280
	v_mov_b32_e32 v143, 0                                      // 000000002E68: 7F1E0280
	v_mov_b32_e32 v223, 0                                      // 000000002E6C: 7FBE0280
	v_mov_b32_e32 v144, 0                                      // 000000002E70: 7F200280
	v_mov_b32_e32 v224, 0                                      // 000000002E74: 7FC00280
	v_mov_b32_e32 v145, 0                                      // 000000002E78: 7F220280
	v_mov_b32_e32 v225, 0                                      // 000000002E7C: 7FC20280
	v_mov_b32_e32 v146, 0                                      // 000000002E80: 7F240280
	v_mov_b32_e32 v226, 0                                      // 000000002E84: 7FC40280
	v_mov_b32_e32 v147, 0                                      // 000000002E88: 7F260280
	v_mov_b32_e32 v227, 0                                      // 000000002E8C: 7FC60280
	v_mov_b32_e32 v148, 0                                      // 000000002E90: 7F280280
	v_mov_b32_e32 v228, 0                                      // 000000002E94: 7FC80280
	v_mov_b32_e32 v149, 0                                      // 000000002E98: 7F2A0280
	v_mov_b32_e32 v229, 0                                      // 000000002E9C: 7FCA0280
	v_mov_b32_e32 v150, 0                                      // 000000002EA0: 7F2C0280
	v_mov_b32_e32 v230, 0                                      // 000000002EA4: 7FCC0280
	v_mov_b32_e32 v151, 0                                      // 000000002EA8: 7F2E0280
	v_mov_b32_e32 v231, 0                                      // 000000002EAC: 7FCE0280
	v_mov_b32_e32 v152, 0                                      // 000000002EB0: 7F300280
	v_mov_b32_e32 v232, 0                                      // 000000002EB4: 7FD00280
	v_mov_b32_e32 v153, 0                                      // 000000002EB8: 7F320280
	v_mov_b32_e32 v233, 0                                      // 000000002EBC: 7FD20280
	v_mov_b32_e32 v154, 0                                      // 000000002EC0: 7F340280
	v_mov_b32_e32 v234, 0                                      // 000000002EC4: 7FD40280
	v_mov_b32_e32 v155, 0                                      // 000000002EC8: 7F360280
	v_mov_b32_e32 v235, 0                                      // 000000002ECC: 7FD60280
	v_mov_b32_e32 v156, 0                                      // 000000002ED0: 7F380280
	v_mov_b32_e32 v236, 0                                      // 000000002ED4: 7FD80280
	v_mov_b32_e32 v157, 0                                      // 000000002ED8: 7F3A0280
	v_mov_b32_e32 v237, 0                                      // 000000002EDC: 7FDA0280
	v_mov_b32_e32 v158, 0                                      // 000000002EE0: 7F3C0280
	v_mov_b32_e32 v238, 0                                      // 000000002EE4: 7FDC0280
	v_mov_b32_e32 v159, 0                                      // 000000002EE8: 7F3E0280
	v_mov_b32_e32 v239, 0                                      // 000000002EEC: 7FDE0280
	v_mov_b32_e32 v160, 0                                      // 000000002EF0: 7F400280
	v_mov_b32_e32 v240, 0                                      // 000000002EF4: 7FE00280
	v_mov_b32_e32 v161, 0                                      // 000000002EF8: 7F420280
	v_mov_b32_e32 v241, 0                                      // 000000002EFC: 7FE20280
	v_mov_b32_e32 v162, 0                                      // 000000002F00: 7F440280
	v_mov_b32_e32 v242, 0                                      // 000000002F04: 7FE40280
	v_mov_b32_e32 v163, 0                                      // 000000002F08: 7F460280
	v_mov_b32_e32 v243, 0                                      // 000000002F0C: 7FE60280
	v_mov_b32_e32 v164, 0                                      // 000000002F10: 7F480280
	v_mov_b32_e32 v244, 0                                      // 000000002F14: 7FE80280
	v_mov_b32_e32 v165, 0                                      // 000000002F18: 7F4A0280
	v_mov_b32_e32 v245, 0                                      // 000000002F1C: 7FEA0280
	v_mov_b32_e32 v166, 0                                      // 000000002F20: 7F4C0280
	v_mov_b32_e32 v246, 0                                      // 000000002F24: 7FEC0280
	v_mov_b32_e32 v167, 0                                      // 000000002F28: 7F4E0280
	v_mov_b32_e32 v247, 0                                      // 000000002F2C: 7FEE0280
	v_mov_b32_e32 v168, 0                                      // 000000002F30: 7F500280
	v_mov_b32_e32 v248, 0                                      // 000000002F34: 7FF00280
	v_mov_b32_e32 v169, 0                                      // 000000002F38: 7F520280
	v_mov_b32_e32 v249, 0                                      // 000000002F3C: 7FF20280
	v_mov_b32_e32 v170, 0                                      // 000000002F40: 7F540280
	v_mov_b32_e32 v250, 0                                      // 000000002F44: 7FF40280
	v_mov_b32_e32 v171, 0                                      // 000000002F48: 7F560280
	v_mov_b32_e32 v251, 0                                      // 000000002F4C: 7FF60280
	s_mul_i32 s60, s2, 0x80                                    // 000000002F50: 923CFF02 00000080
	s_cmp_eq_u32 s88, 0                                        // 000000002F58: BF068058
	s_cselect_b32 s61, 1, 4                                    // 000000002F5C: 853D8481
	s_mul_i32 s60, s60, s61                                    // 000000002F60: 923C3D3C
	s_mov_b32 s90, s8                                          // 000000002F64: BEDA0008
	s_mov_b32 s91, s9                                          // 000000002F68: BEDB0009
	s_add_u32 s8, s60, s8                                      // 000000002F6C: 8008083C
	s_addc_u32 s9, 0, s9                                       // 000000002F70: 82090980
	v_lshrrev_b32_e32 v4, 4, v0                                // 000000002F74: 20080084
	v_mul_lo_u32 v20, 34, v4                                   // 000000002F78: D2850014 000208A2
	v_and_b32_e32 v4, 15, v0                                   // 000000002F80: 2608008F
	v_mul_lo_u32 v5, 2, v4                                     // 000000002F84: D2850005 00020882
	v_add_u32_e32 v20, v5, v20                                 // 000000002F8C: 68282905
	s_mul_i32 s60, s7, 0x88                                    // 000000002F90: 923CFF07 00000088
	v_add_u32_e32 v20, s60, v20                                // 000000002F98: 6828283C
	v_lshlrev_b32_e32 v20, 2, v20                              // 000000002F9C: 24282882
	v_and_b32_e32 v4, 31, v0                                   // 000000002FA0: 2608009F
	v_lshrrev_b32_e32 v4, 1, v4                                // 000000002FA4: 20080881
	v_mul_lo_u32 v21, 34, v4                                   // 000000002FA8: D2850015 000208A2
	v_lshrrev_b32_e32 v4, 5, v0                                // 000000002FB0: 20080085
	v_mul_lo_u32 v4, 8, v4                                     // 000000002FB4: D2850004 00020888
	v_add_u32_e32 v21, v21, v4                                 // 000000002FBC: 682A0915
	v_and_b32_e32 v5, 1, v0                                    // 000000002FC0: 260A0081
	v_add_u32_e32 v21, v5, v21                                 // 000000002FC4: 682A2B05
	s_mul_i32 s60, s7, 2                                       // 000000002FC8: 923C8207
	v_add_u32_e32 v21, s60, v21                                // 000000002FCC: 682A2A3C
	v_lshlrev_b32_e32 v21, 2, v21                              // 000000002FD0: 242A2A82
	s_mul_i32 s60, s7, 0x1420                                  // 000000002FD4: 923CFF07 00001420
	s_add_u32 s48, 0, s60                                      // 000000002FDC: 80303C80
	s_add_u32 s49, 0x5080, s48                                 // 000000002FE0: 803130FF 00005080
	s_add_u32 s50, 0x5080, s49                                 // 000000002FE8: 803231FF 00005080
	v_lshrrev_b32_e32 v4, 4, v0                                // 000000002FF0: 20080084
	v_lshlrev_b32_e32 v5, 2, v4                                // 000000002FF4: 240A0882
	v_and_b32_e32 v4, 15, v0                                   // 000000002FF8: 2608008F
	v_lshrrev_b32_e32 v6, 2, v4                                // 000000002FFC: 200C0882
	v_lshlrev_b32_e32 v6, 5, v6                                // 000000003000: 240C0C85
	v_add_u32_e32 v5, v6, v5                                   // 000000003004: 680A0B06
	v_and_b32_e32 v4, 3, v0                                    // 000000003008: 26080083
	v_mul_u32_u24_e32 v6, 0x508, v4                            // 00000000300C: 100C08FF 00000508
	v_add_u32_e32 v5, v6, v5                                   // 000000003014: 680A0B06
	v_lshlrev_b32_e32 v2, 2, v5                                // 000000003018: 24040A82
	s_waitcnt lgkmcnt(0)                                       // 00000000301C: BF8CC07F
	s_mul_i32 s60, s2, 0x80                                    // 000000003020: 923CFF02 00000080
	s_mul_i32 s60, s60, s69                                    // 000000003028: 923C453C
	s_mul_i32 s61, s5, s72                                     // 00000000302C: 923D4805
	s_add_u32 s60, s61, s60                                    // 000000003030: 803C3C3D
	s_add_u32 s24, s60, s24                                    // 000000003034: 8018183C
	s_addc_u32 s25, 0, s25                                     // 000000003038: 82191980
	s_lshr_b32 s60, s64, s88                                   // 00000000303C: 8F3C5840
	s_mul_i32 s60, s4, s60                                     // 000000003040: 923C3C04
	s_lshr_b32 s60, s60, 7                                     // 000000003044: 8F3C873C
	s_mul_i32 s60, s60, 0x800                                  // 000000003048: 923CFF3C 00000800
	s_add_u32 s24, s60, s24                                    // 000000003050: 8018183C
	s_addc_u32 s25, 0, s25                                     // 000000003054: 82191980
	s_lshr_b32 s60, s69, s88                                   // 000000003058: 8F3C5845
	s_mul_i32 s60, s4, s60                                     // 00000000305C: 923C3C04
	s_add_u32 s20, s60, s20                                    // 000000003060: 8014143C
	s_addc_u32 s21, 0, s21                                     // 000000003064: 82151580
	s_mul_i32 s60, s7, 16                                      // 000000003068: 923C9007
	s_mul_i32 s60, s60, s69                                    // 00000000306C: 923C453C
	v_lshlrev_b32_e32 v90, 4, v0                               // 000000003070: 24B40084
	v_add_u32_e32 v90, s60, v90                                // 000000003074: 68B4B43C
	s_mul_i32 s60, 64, s69                                     // 000000003078: 923C45C0
	v_add_u32_e32 v91, s60, v90                                // 00000000307C: 68B6B43C
	s_mov_b32 s84, s24                                         // 000000003080: BED40018
	s_mov_b32 s85, s25                                         // 000000003084: BED50019
	s_mov_b32 s86, s26                                         // 000000003088: BED6001A
	s_mov_b32 s87, s27                                         // 00000000308C: BED7001B
	s_mul_i32 s60, s69, s65                                    // 000000003090: 923C4145
	s_add_u32 s84, s60, s84                                    // 000000003094: 8054543C
	s_addc_u32 s85, 0, s85                                     // 000000003098: 82555580
	s_lshr_b32 s60, s64, 7                                     // 00000000309C: 8F3C8740
	s_mul_i32 s61, s60, 4                                      // 0000000030A0: 923D843C
	v_and_b32_e32 v22, 15, v0                                  // 0000000030A4: 262C008F
	v_mul_lo_u32 v22, v22, s61                                 // 0000000030A8: D2850016 00007B16
	s_lshr_b32 s60, s65, 7                                     // 0000000030B0: 8F3C8741
	s_mul_i32 s60, s60, s61                                    // 0000000030B4: 923C3D3C
	v_add_u32_e64 v23, v22, s60                                // 0000000030B8: D1340017 00007916
	s_mul_i32 s60, s2, 1                                       // 0000000030C0: 923C8102
	s_mul_i32 s60, s60, s61                                    // 0000000030C4: 923C3D3C
	s_mul_i32 s61, s5, s74                                     // 0000000030C8: 923D4A05
	s_add_u32 s61, s61, s60                                    // 0000000030CC: 803D3C3D
	s_add_u32 s32, s61, s32                                    // 0000000030D0: 8020203D
	s_addc_u32 s33, 0, s33                                     // 0000000030D4: 82212180
	s_lshr_b32 s60, s64, 7                                     // 0000000030D8: 8F3C8740
	s_lshr_b32 s60, s60, s88                                   // 0000000030DC: 8F3C583C
	s_mul_i32 s60, s4, s60                                     // 0000000030E0: 923C3C04
	s_mul_i32 s61, s60, 4                                      // 0000000030E4: 923D843C
	s_add_u32 s32, s61, s32                                    // 0000000030E8: 8020203D
	s_addc_u32 s33, 0, s33                                     // 0000000030EC: 82212180
	s_lshl_b32 s62, s66, 2                                     // 0000000030F0: 8E3E8242
	s_mul_i32 s62, s60, s62                                    // 0000000030F4: 923E3E3C
	s_add_u32 s28, s62, s28                                    // 0000000030F8: 801C1C3E
	s_addc_u32 s29, 0, s29                                     // 0000000030FC: 821D1D80
	s_mov_b32 s4, 4                                            // 000000003100: BE840084
	s_mov_b32 s57, 0x80                                        // 000000003104: BEB900FF 00000080
	s_mov_b32 s58, 0x800                                       // 00000000310C: BEBA00FF 00000800
	s_mov_b32 s83, s58                                         // 000000003114: BED3003A
	s_mov_b32 s52, 0x7060302                                   // 000000003118: BEB400FF 07060302
	s_mov_b32 s53, 0x400                                       // 000000003120: BEB500FF 00000400
	s_mov_b32 s54, 0x40100                                     // 000000003128: BEB600FF 00040100
	s_mov_b32 s55, 0x4020100                                   // 000000003130: BEB700FF 04020100
	s_mov_b32 s6, 0x3fb8aa3b                                   // 000000003138: BE8600FF 3FB8AA3B
	s_mov_b32 s78, 0xbd92220c                                  // 000000003140: BECE00FF BD92220C
	s_mov_b32 s79, 0xbd92220c                                  // 000000003148: BECF00FF BD92220C
	s_mov_b32 m0, s48                                          // 000000003150: BEFC0030
	v_mov_b32_e32 v1, 0xbfcc4231                               // 000000003154: 7E0202FF BFCC4231
	v_mov_b32_e32 v17, 0xffff0000                              // 00000000315C: 7E2202FF FFFF0000
	v_mov_b32_e32 v18, 0x7fff0000                              // 000000003164: 7E2402FF 7FFF0000
	v_mov_b32_e32 v19, 0x7fff                                  // 00000000316C: 7E2602FF 00007FFF
	s_waitcnt vmcnt(0) expcnt(0) lgkmcnt(0)                    // 000000003174: BF8C0000
	v_lshrrev_b32_e32 v4, 5, v0                                // 000000003178: 20080085
	v_xor_b32_e32 v5, 1, v4                                    // 00000000317C: 2A0A0881
	v_readlane_b32 s82, v3, 0                                  // 000000003180: D2890052 00010103
	s_and_b32 s82, s82, 0xffffff                               // 000000003188: 8652FF52 00FFFFFF
	v_mul_lo_u32 v6, v5, s82                                   // 000000003190: D2850006 0000A505
	v_readlane_b32 s82, v3, 1                                  // 000000003198: D2890052 00010303
	s_and_b32 s82, s82, 0xffffff                               // 0000000031A0: 8652FF52 00FFFFFF
	v_mul_lo_u32 v7, v4, s82                                   // 0000000031A8: D2850007 0000A504
	v_add_u32_e32 v70, v6, v7                                  // 0000000031B0: 688C0F06
	v_mul_lo_u32 v70, v70, s68                                 // 0000000031B4: D2850046 00008946
	v_readlane_b32 s82, v3, 2                                  // 0000000031BC: D2890052 00010503
	s_and_b32 s82, s82, 0xffffff                               // 0000000031C4: 8652FF52 00FFFFFF
	v_mul_lo_u32 v6, v5, s82                                   // 0000000031CC: D2850006 0000A505
	v_readlane_b32 s82, v3, 3                                  // 0000000031D4: D2890052 00010703
	s_and_b32 s82, s82, 0xffffff                               // 0000000031DC: 8652FF52 00FFFFFF
	v_mul_lo_u32 v7, v4, s82                                   // 0000000031E4: D2850007 0000A504
	v_add_u32_e32 v71, v6, v7                                  // 0000000031EC: 688E0F06
	v_mul_lo_u32 v71, v71, s68                                 // 0000000031F0: D2850047 00008947
	v_readlane_b32 s82, v3, 4                                  // 0000000031F8: D2890052 00010903
	s_and_b32 s82, s82, 0xffffff                               // 000000003200: 8652FF52 00FFFFFF
	v_mul_lo_u32 v6, v5, s82                                   // 000000003208: D2850006 0000A505
	v_readlane_b32 s82, v3, 5                                  // 000000003210: D2890052 00010B03
	s_and_b32 s82, s82, 0xffffff                               // 000000003218: 8652FF52 00FFFFFF
	v_mul_lo_u32 v7, v4, s82                                   // 000000003220: D2850007 0000A504
	v_add_u32_e32 v72, v6, v7                                  // 000000003228: 68900F06
	v_mul_lo_u32 v72, v72, s68                                 // 00000000322C: D2850048 00008948
	v_readlane_b32 s82, v3, 6                                  // 000000003234: D2890052 00010D03
	s_and_b32 s82, s82, 0xffffff                               // 00000000323C: 8652FF52 00FFFFFF
	v_mul_lo_u32 v6, v5, s82                                   // 000000003244: D2850006 0000A505
	v_readlane_b32 s82, v3, 7                                  // 00000000324C: D2890052 00010F03
	s_and_b32 s82, s82, 0xffffff                               // 000000003254: 8652FF52 00FFFFFF
	v_mul_lo_u32 v7, v4, s82                                   // 00000000325C: D2850007 0000A504
	v_add_u32_e32 v73, v6, v7                                  // 000000003264: 68920F06
	v_mul_lo_u32 v73, v73, s68                                 // 000000003268: D2850049 00008949
	v_readlane_b32 s82, v3, 8                                  // 000000003270: D2890052 00011103
	s_and_b32 s82, s82, 0xffffff                               // 000000003278: 8652FF52 00FFFFFF
	v_mul_lo_u32 v6, v5, s82                                   // 000000003280: D2850006 0000A505
	v_readlane_b32 s82, v3, 9                                  // 000000003288: D2890052 00011303
	s_and_b32 s82, s82, 0xffffff                               // 000000003290: 8652FF52 00FFFFFF
	v_mul_lo_u32 v7, v4, s82                                   // 000000003298: D2850007 0000A504
	v_add_u32_e32 v74, v6, v7                                  // 0000000032A0: 68940F06
	v_mul_lo_u32 v74, v74, s68                                 // 0000000032A4: D285004A 0000894A
	v_readlane_b32 s82, v3, 10                                 // 0000000032AC: D2890052 00011503
	s_and_b32 s82, s82, 0xffffff                               // 0000000032B4: 8652FF52 00FFFFFF
	v_mul_lo_u32 v6, v5, s82                                   // 0000000032BC: D2850006 0000A505
	v_readlane_b32 s82, v3, 11                                 // 0000000032C4: D2890052 00011703
	s_and_b32 s82, s82, 0xffffff                               // 0000000032CC: 8652FF52 00FFFFFF
	v_mul_lo_u32 v7, v4, s82                                   // 0000000032D4: D2850007 0000A504
	v_add_u32_e32 v75, v6, v7                                  // 0000000032DC: 68960F06
	v_mul_lo_u32 v75, v75, s68                                 // 0000000032E0: D285004B 0000894B
	v_readlane_b32 s82, v3, 12                                 // 0000000032E8: D2890052 00011903
	s_and_b32 s82, s82, 0xffffff                               // 0000000032F0: 8652FF52 00FFFFFF
	v_mul_lo_u32 v6, v5, s82                                   // 0000000032F8: D2850006 0000A505
	v_readlane_b32 s82, v3, 13                                 // 000000003300: D2890052 00011B03
	s_and_b32 s82, s82, 0xffffff                               // 000000003308: 8652FF52 00FFFFFF
	v_mul_lo_u32 v7, v4, s82                                   // 000000003310: D2850007 0000A504
	v_add_u32_e32 v76, v6, v7                                  // 000000003318: 68980F06
	v_mul_lo_u32 v76, v76, s68                                 // 00000000331C: D285004C 0000894C
	v_readlane_b32 s82, v3, 14                                 // 000000003324: D2890052 00011D03
	s_and_b32 s82, s82, 0xffffff                               // 00000000332C: 8652FF52 00FFFFFF
	v_mul_lo_u32 v6, v5, s82                                   // 000000003334: D2850006 0000A505
	v_readlane_b32 s82, v3, 15                                 // 00000000333C: D2890052 00011F03
	s_and_b32 s82, s82, 0xffffff                               // 000000003344: 8652FF52 00FFFFFF
	v_mul_lo_u32 v7, v4, s82                                   // 00000000334C: D2850007 0000A504
	v_add_u32_e32 v77, v6, v7                                  // 000000003354: 689A0F06
	v_mul_lo_u32 v77, v77, s68                                 // 000000003358: D285004D 0000894D
	v_readlane_b32 s82, v3, 16                                 // 000000003360: D2890052 00012103
	s_and_b32 s82, s82, 0xffffff                               // 000000003368: 8652FF52 00FFFFFF
	v_mul_lo_u32 v6, v5, s82                                   // 000000003370: D2850006 0000A505
	v_readlane_b32 s82, v3, 17                                 // 000000003378: D2890052 00012303
	s_and_b32 s82, s82, 0xffffff                               // 000000003380: 8652FF52 00FFFFFF
	v_mul_lo_u32 v7, v4, s82                                   // 000000003388: D2850007 0000A504
	v_add_u32_e32 v78, v6, v7                                  // 000000003390: 689C0F06
	v_mul_lo_u32 v78, v78, s68                                 // 000000003394: D285004E 0000894E
	v_readlane_b32 s82, v3, 18                                 // 00000000339C: D2890052 00012503
	s_and_b32 s82, s82, 0xffffff                               // 0000000033A4: 8652FF52 00FFFFFF
	v_mul_lo_u32 v6, v5, s82                                   // 0000000033AC: D2850006 0000A505
	v_readlane_b32 s82, v3, 19                                 // 0000000033B4: D2890052 00012703
	s_and_b32 s82, s82, 0xffffff                               // 0000000033BC: 8652FF52 00FFFFFF
	v_mul_lo_u32 v7, v4, s82                                   // 0000000033C4: D2850007 0000A504
	v_add_u32_e32 v79, v6, v7                                  // 0000000033CC: 689E0F06
	v_mul_lo_u32 v79, v79, s68                                 // 0000000033D0: D285004F 0000894F
	v_readlane_b32 s82, v3, 20                                 // 0000000033D8: D2890052 00012903
	s_and_b32 s82, s82, 0xffffff                               // 0000000033E0: 8652FF52 00FFFFFF
	v_mul_lo_u32 v6, v5, s82                                   // 0000000033E8: D2850006 0000A505
	v_readlane_b32 s82, v3, 21                                 // 0000000033F0: D2890052 00012B03
	s_and_b32 s82, s82, 0xffffff                               // 0000000033F8: 8652FF52 00FFFFFF
	v_mul_lo_u32 v7, v4, s82                                   // 000000003400: D2850007 0000A504
	v_add_u32_e32 v80, v6, v7                                  // 000000003408: 68A00F06
	v_mul_lo_u32 v80, v80, s68                                 // 00000000340C: D2850050 00008950
	v_readlane_b32 s82, v3, 22                                 // 000000003414: D2890052 00012D03
	s_and_b32 s82, s82, 0xffffff                               // 00000000341C: 8652FF52 00FFFFFF
	v_mul_lo_u32 v6, v5, s82                                   // 000000003424: D2850006 0000A505
	v_readlane_b32 s82, v3, 23                                 // 00000000342C: D2890052 00012F03
	s_and_b32 s82, s82, 0xffffff                               // 000000003434: 8652FF52 00FFFFFF
	v_mul_lo_u32 v7, v4, s82                                   // 00000000343C: D2850007 0000A504
	v_add_u32_e32 v81, v6, v7                                  // 000000003444: 68A20F06
	v_mul_lo_u32 v81, v81, s68                                 // 000000003448: D2850051 00008951
	v_readlane_b32 s82, v3, 24                                 // 000000003450: D2890052 00013103
	s_and_b32 s82, s82, 0xffffff                               // 000000003458: 8652FF52 00FFFFFF
	v_mul_lo_u32 v6, v5, s82                                   // 000000003460: D2850006 0000A505
	v_readlane_b32 s82, v3, 25                                 // 000000003468: D2890052 00013303
	s_and_b32 s82, s82, 0xffffff                               // 000000003470: 8652FF52 00FFFFFF
	v_mul_lo_u32 v7, v4, s82                                   // 000000003478: D2850007 0000A504
	v_add_u32_e32 v82, v6, v7                                  // 000000003480: 68A40F06
	v_mul_lo_u32 v82, v82, s68                                 // 000000003484: D2850052 00008952
	v_readlane_b32 s82, v3, 26                                 // 00000000348C: D2890052 00013503
	s_and_b32 s82, s82, 0xffffff                               // 000000003494: 8652FF52 00FFFFFF
	v_mul_lo_u32 v6, v5, s82                                   // 00000000349C: D2850006 0000A505
	v_readlane_b32 s82, v3, 27                                 // 0000000034A4: D2890052 00013703
	s_and_b32 s82, s82, 0xffffff                               // 0000000034AC: 8652FF52 00FFFFFF
	v_mul_lo_u32 v7, v4, s82                                   // 0000000034B4: D2850007 0000A504
	v_add_u32_e32 v83, v6, v7                                  // 0000000034BC: 68A60F06
	v_mul_lo_u32 v83, v83, s68                                 // 0000000034C0: D2850053 00008953
	v_readlane_b32 s82, v3, 28                                 // 0000000034C8: D2890052 00013903
	s_and_b32 s82, s82, 0xffffff                               // 0000000034D0: 8652FF52 00FFFFFF
	v_mul_lo_u32 v6, v5, s82                                   // 0000000034D8: D2850006 0000A505
	v_readlane_b32 s82, v3, 29                                 // 0000000034E0: D2890052 00013B03
	s_and_b32 s82, s82, 0xffffff                               // 0000000034E8: 8652FF52 00FFFFFF
	v_mul_lo_u32 v7, v4, s82                                   // 0000000034F0: D2850007 0000A504
	v_add_u32_e32 v84, v6, v7                                  // 0000000034F8: 68A80F06
	v_mul_lo_u32 v84, v84, s68                                 // 0000000034FC: D2850054 00008954
	v_readlane_b32 s82, v3, 30                                 // 000000003504: D2890052 00013D03
	s_and_b32 s82, s82, 0xffffff                               // 00000000350C: 8652FF52 00FFFFFF
	v_mul_lo_u32 v6, v5, s82                                   // 000000003514: D2850006 0000A505
	v_readlane_b32 s82, v3, 31                                 // 00000000351C: D2890052 00013F03
	s_and_b32 s82, s82, 0xffffff                               // 000000003524: 8652FF52 00FFFFFF
	v_mul_lo_u32 v7, v4, s82                                   // 00000000352C: D2850007 0000A504
	v_add_u32_e32 v85, v6, v7                                  // 000000003534: 68AA0F06
	v_mul_lo_u32 v85, v85, s68                                 // 000000003538: D2850055 00008955
	v_readlane_b32 s82, v3, 32                                 // 000000003540: D2890052 00014103
	s_and_b32 s82, s82, 0xffffff                               // 000000003548: 8652FF52 00FFFFFF
	v_mul_lo_u32 v6, v5, s82                                   // 000000003550: D2850006 0000A505
	v_readlane_b32 s82, v3, 33                                 // 000000003558: D2890052 00014303
	s_and_b32 s82, s82, 0xffffff                               // 000000003560: 8652FF52 00FFFFFF
	v_mul_lo_u32 v7, v4, s82                                   // 000000003568: D2850007 0000A504
	v_add_u32_e32 v86, v6, v7                                  // 000000003570: 68AC0F06
	v_mul_lo_u32 v86, v86, s68                                 // 000000003574: D2850056 00008956
	v_readlane_b32 s82, v3, 34                                 // 00000000357C: D2890052 00014503
	s_and_b32 s82, s82, 0xffffff                               // 000000003584: 8652FF52 00FFFFFF
	v_mul_lo_u32 v6, v5, s82                                   // 00000000358C: D2850006 0000A505
	v_readlane_b32 s82, v3, 35                                 // 000000003594: D2890052 00014703
	s_and_b32 s82, s82, 0xffffff                               // 00000000359C: 8652FF52 00FFFFFF
	v_mul_lo_u32 v7, v4, s82                                   // 0000000035A4: D2850007 0000A504
	v_add_u32_e32 v87, v6, v7                                  // 0000000035AC: 68AE0F06
	v_mul_lo_u32 v87, v87, s68                                 // 0000000035B0: D2850057 00008957
	v_readlane_b32 s82, v3, 36                                 // 0000000035B8: D2890052 00014903
	s_and_b32 s82, s82, 0xffffff                               // 0000000035C0: 8652FF52 00FFFFFF
	v_mul_lo_u32 v6, v5, s82                                   // 0000000035C8: D2850006 0000A505
	v_readlane_b32 s82, v3, 37                                 // 0000000035D0: D2890052 00014B03
	s_and_b32 s82, s82, 0xffffff                               // 0000000035D8: 8652FF52 00FFFFFF
	v_mul_lo_u32 v7, v4, s82                                   // 0000000035E0: D2850007 0000A504
	v_add_u32_e32 v88, v6, v7                                  // 0000000035E8: 68B00F06
	v_mul_lo_u32 v88, v88, s68                                 // 0000000035EC: D2850058 00008958
	v_readlane_b32 s82, v3, 38                                 // 0000000035F4: D2890052 00014D03
	s_and_b32 s82, s82, 0xffffff                               // 0000000035FC: 8652FF52 00FFFFFF
	v_mul_lo_u32 v6, v5, s82                                   // 000000003604: D2850006 0000A505
	v_readlane_b32 s82, v3, 39                                 // 00000000360C: D2890052 00014F03
	s_and_b32 s82, s82, 0xffffff                               // 000000003614: 8652FF52 00FFFFFF
	v_mul_lo_u32 v7, v4, s82                                   // 00000000361C: D2850007 0000A504
	v_add_u32_e32 v89, v6, v7                                  // 000000003624: 68B20F06
	v_mul_lo_u32 v89, v89, s68                                 // 000000003628: D2850059 00008959
	v_and_b32_e32 v4, 31, v0                                   // 000000003630: 2608009F
	v_lshlrev_b32_e32 v4, 2, v4                                // 000000003634: 24080882
	v_add_u32_e32 v70, v70, v4                                 // 000000003638: 688C0946
	v_add_u32_e32 v71, v71, v4                                 // 00000000363C: 688E0947
	v_add_u32_e32 v72, v72, v4                                 // 000000003640: 68900948
	v_add_u32_e32 v73, v73, v4                                 // 000000003644: 68920949
	v_add_u32_e32 v74, v74, v4                                 // 000000003648: 6894094A
	v_add_u32_e32 v75, v75, v4                                 // 00000000364C: 6896094B
	v_add_u32_e32 v76, v76, v4                                 // 000000003650: 6898094C
	v_add_u32_e32 v77, v77, v4                                 // 000000003654: 689A094D
	v_add_u32_e32 v78, v78, v4                                 // 000000003658: 689C094E
	v_add_u32_e32 v79, v79, v4                                 // 00000000365C: 689E094F
	v_add_u32_e32 v80, v80, v4                                 // 000000003660: 68A00950
	v_add_u32_e32 v81, v81, v4                                 // 000000003664: 68A20951
	v_add_u32_e32 v82, v82, v4                                 // 000000003668: 68A40952
	v_add_u32_e32 v83, v83, v4                                 // 00000000366C: 68A60953
	v_add_u32_e32 v84, v84, v4                                 // 000000003670: 68A80954
	v_add_u32_e32 v85, v85, v4                                 // 000000003674: 68AA0955
	v_add_u32_e32 v86, v86, v4                                 // 000000003678: 68AC0956
	v_add_u32_e32 v87, v87, v4                                 // 00000000367C: 68AE0957
	v_add_u32_e32 v88, v88, v4                                 // 000000003680: 68B00958
	v_add_u32_e32 v89, v89, v4                                 // 000000003684: 68B20959
	v_and_b32_e32 v30, 0xffffff, v30                           // 000000003688: 263C3CFF 00FFFFFF
	v_lshlrev_b32_e32 v30, 2, v30                              // 000000003690: 243C3C82
	v_and_b32_e32 v31, 0xffffff, v31                           // 000000003694: 263E3EFF 00FFFFFF
	v_lshlrev_b32_e32 v31, 2, v31                              // 00000000369C: 243E3E82
	v_and_b32_e32 v32, 0xffffff, v32                           // 0000000036A0: 264040FF 00FFFFFF
	v_lshlrev_b32_e32 v32, 2, v32                              // 0000000036A8: 24404082
	v_and_b32_e32 v33, 0xffffff, v33                           // 0000000036AC: 264242FF 00FFFFFF
	v_lshlrev_b32_e32 v33, 2, v33                              // 0000000036B4: 24424282
	v_and_b32_e32 v34, 0xffffff, v34                           // 0000000036B8: 264444FF 00FFFFFF
	v_lshlrev_b32_e32 v34, 2, v34                              // 0000000036C0: 24444482
	v_and_b32_e32 v35, 0xffffff, v35                           // 0000000036C4: 264646FF 00FFFFFF
	v_lshlrev_b32_e32 v35, 2, v35                              // 0000000036CC: 24464682
	v_and_b32_e32 v36, 0xffffff, v36                           // 0000000036D0: 264848FF 00FFFFFF
	v_lshlrev_b32_e32 v36, 2, v36                              // 0000000036D8: 24484882
	v_and_b32_e32 v37, 0xffffff, v37                           // 0000000036DC: 264A4AFF 00FFFFFF
	v_lshlrev_b32_e32 v37, 2, v37                              // 0000000036E4: 244A4A82
	v_and_b32_e32 v38, 0xffffff, v38                           // 0000000036E8: 264C4CFF 00FFFFFF
	v_lshlrev_b32_e32 v38, 2, v38                              // 0000000036F0: 244C4C82
	v_and_b32_e32 v39, 0xffffff, v39                           // 0000000036F4: 264E4EFF 00FFFFFF
	v_lshlrev_b32_e32 v39, 2, v39                              // 0000000036FC: 244E4E82
	s_lshl_b32 s3, s66, 2                                      // 000000003700: 8E038242
	buffer_load_dword v70, s[20:23], 0 offen lds               // 000000003704: E0511000 80050046
	s_add_u32 m0, 0x100, s48                                   // 00000000370C: 807C30FF 00000100
	buffer_load_dword v71, s[20:23], 0 offen lds               // 000000003714: E0511000 80050047
	s_add_u32 m0, 0x200, s48                                   // 00000000371C: 807C30FF 00000200
	buffer_load_dword v72, s[20:23], 0 offen lds               // 000000003724: E0511000 80050048
	s_add_u32 m0, 0x300, s48                                   // 00000000372C: 807C30FF 00000300
	buffer_load_dword v73, s[20:23], 0 offen lds               // 000000003734: E0511000 80050049
	s_add_u32 m0, 0x400, s48                                   // 00000000373C: 807C30FF 00000400
	buffer_load_dword v74, s[20:23], 0 offen lds               // 000000003744: E0511000 8005004A
	s_add_u32 m0, 0x500, s48                                   // 00000000374C: 807C30FF 00000500
	buffer_load_dword v75, s[20:23], 0 offen lds               // 000000003754: E0511000 8005004B
	s_add_u32 m0, 0x600, s48                                   // 00000000375C: 807C30FF 00000600
	buffer_load_dword v76, s[20:23], 0 offen lds               // 000000003764: E0511000 8005004C
	s_add_u32 m0, 0x700, s48                                   // 00000000376C: 807C30FF 00000700
	buffer_load_dword v77, s[20:23], 0 offen lds               // 000000003774: E0511000 8005004D
	s_add_u32 m0, 0x800, s48                                   // 00000000377C: 807C30FF 00000800
	buffer_load_dword v78, s[20:23], 0 offen lds               // 000000003784: E0511000 8005004E
	s_add_u32 m0, 0x900, s48                                   // 00000000378C: 807C30FF 00000900
	buffer_load_dword v79, s[20:23], 0 offen lds               // 000000003794: E0511000 8005004F
	s_add_u32 m0, 0xa00, s48                                   // 00000000379C: 807C30FF 00000A00
	buffer_load_dword v80, s[20:23], 0 offen lds               // 0000000037A4: E0511000 80050050
	s_add_u32 m0, 0xb00, s48                                   // 0000000037AC: 807C30FF 00000B00
	buffer_load_dword v81, s[20:23], 0 offen lds               // 0000000037B4: E0511000 80050051
	s_add_u32 m0, 0xc00, s48                                   // 0000000037BC: 807C30FF 00000C00
	buffer_load_dword v82, s[20:23], 0 offen lds               // 0000000037C4: E0511000 80050052
	s_add_u32 m0, 0xd00, s48                                   // 0000000037CC: 807C30FF 00000D00
	buffer_load_dword v83, s[20:23], 0 offen lds               // 0000000037D4: E0511000 80050053
	s_add_u32 m0, 0xe00, s48                                   // 0000000037DC: 807C30FF 00000E00
	buffer_load_dword v84, s[20:23], 0 offen lds               // 0000000037E4: E0511000 80050054
	s_add_u32 m0, 0xf00, s48                                   // 0000000037EC: 807C30FF 00000F00
	buffer_load_dword v85, s[20:23], 0 offen lds               // 0000000037F4: E0511000 80050055
	s_add_u32 m0, 0x1000, s48                                  // 0000000037FC: 807C30FF 00001000
	buffer_load_dword v86, s[20:23], 0 offen lds               // 000000003804: E0511000 80050056
	s_add_u32 m0, 0x1100, s48                                  // 00000000380C: 807C30FF 00001100
	buffer_load_dword v87, s[20:23], 0 offen lds               // 000000003814: E0511000 80050057
	s_add_u32 m0, 0x1200, s48                                  // 00000000381C: 807C30FF 00001200
	buffer_load_dword v88, s[20:23], 0 offen lds               // 000000003824: E0511000 80050058
	s_add_u32 m0, 0x1300, s48                                  // 00000000382C: 807C30FF 00001300
	buffer_load_dword v89, s[20:23], 0 offen lds               // 000000003834: E0511000 80050059
	s_add_u32 m0, 0, s49                                       // 00000000383C: 807C3180
	s_add_u32 s20, s57, s20                                    // 000000003840: 80141439
	s_addc_u32 s21, 0, s21                                     // 000000003844: 82151580
	buffer_load_dword v40, v30, s[28:31], 0 offen              // 000000003848: E0501000 8007281E
	buffer_load_dword v41, v31, s[28:31], 0 offen              // 000000003850: E0501000 8007291F
	buffer_load_dword v42, v32, s[28:31], 0 offen              // 000000003858: E0501000 80072A20
	buffer_load_dword v43, v33, s[28:31], 0 offen              // 000000003860: E0501000 80072B21
	buffer_load_dword v44, v34, s[28:31], 0 offen              // 000000003868: E0501000 80072C22
	buffer_load_dword v45, v35, s[28:31], 0 offen              // 000000003870: E0501000 80072D23
	buffer_load_dword v46, v36, s[28:31], 0 offen              // 000000003878: E0501000 80072E24
	buffer_load_dword v47, v37, s[28:31], 0 offen              // 000000003880: E0501000 80072F25
	buffer_load_dword v48, v38, s[28:31], 0 offen              // 000000003888: E0501000 80073026
	buffer_load_dword v49, v39, s[28:31], 0 offen              // 000000003890: E0501000 80073127
	s_add_u32 s28, s3, s28                                     // 000000003898: 801C1C03
	s_addc_u32 s29, 0, s29                                     // 00000000389C: 821D1D80
	buffer_load_dwordx4 a[160:163], v90, s[24:27], 0 offen     // 0000000038A0: E05C1000 8086A05A
	buffer_load_dwordx4 a[164:167], v90, s[24:27], 0 offen offset:1024// 0000000038A8: E05C1400 8086A45A
	buffer_load_dwordx4 a[168:171], v91, s[24:27], 0 offen     // 0000000038B0: E05C1000 8086A85B
	buffer_load_dwordx4 a[172:175], v91, s[24:27], 0 offen offset:1024// 0000000038B8: E05C1400 8086AC5B
	s_add_u32 s24, s58, s24                                    // 0000000038C0: 8018183A
	s_addc_u32 s25, 0, s25                                     // 0000000038C4: 82191980
	buffer_load_dword v24, v22, s[32:35], 0 offen              // 0000000038C8: E0501000 80081816
	buffer_load_dword v70, s[20:23], 0 offen lds               // 0000000038D0: E0511000 80050046
	s_add_u32 m0, 0x100, s49                                   // 0000000038D8: 807C31FF 00000100
	buffer_load_dword v71, s[20:23], 0 offen lds               // 0000000038E0: E0511000 80050047
	s_add_u32 m0, 0x200, s49                                   // 0000000038E8: 807C31FF 00000200
	buffer_load_dword v72, s[20:23], 0 offen lds               // 0000000038F0: E0511000 80050048
	s_add_u32 m0, 0x300, s49                                   // 0000000038F8: 807C31FF 00000300
	buffer_load_dword v73, s[20:23], 0 offen lds               // 000000003900: E0511000 80050049
	s_add_u32 m0, 0x400, s49                                   // 000000003908: 807C31FF 00000400
	buffer_load_dword v74, s[20:23], 0 offen lds               // 000000003910: E0511000 8005004A
	s_add_u32 m0, 0x500, s49                                   // 000000003918: 807C31FF 00000500
	buffer_load_dword v75, s[20:23], 0 offen lds               // 000000003920: E0511000 8005004B
	s_add_u32 m0, 0x600, s49                                   // 000000003928: 807C31FF 00000600
	buffer_load_dword v76, s[20:23], 0 offen lds               // 000000003930: E0511000 8005004C
	s_add_u32 m0, 0x700, s49                                   // 000000003938: 807C31FF 00000700
	buffer_load_dword v77, s[20:23], 0 offen lds               // 000000003940: E0511000 8005004D
	s_add_u32 m0, 0x800, s49                                   // 000000003948: 807C31FF 00000800
	buffer_load_dword v78, s[20:23], 0 offen lds               // 000000003950: E0511000 8005004E
	s_add_u32 m0, 0x900, s49                                   // 000000003958: 807C31FF 00000900
	buffer_load_dword v79, s[20:23], 0 offen lds               // 000000003960: E0511000 8005004F
	s_add_u32 m0, 0xa00, s49                                   // 000000003968: 807C31FF 00000A00
	buffer_load_dword v80, s[20:23], 0 offen lds               // 000000003970: E0511000 80050050
	s_add_u32 m0, 0xb00, s49                                   // 000000003978: 807C31FF 00000B00
	buffer_load_dword v81, s[20:23], 0 offen lds               // 000000003980: E0511000 80050051
	s_add_u32 m0, 0xc00, s49                                   // 000000003988: 807C31FF 00000C00
	buffer_load_dword v82, s[20:23], 0 offen lds               // 000000003990: E0511000 80050052
	s_add_u32 m0, 0xd00, s49                                   // 000000003998: 807C31FF 00000D00
	buffer_load_dword v83, s[20:23], 0 offen lds               // 0000000039A0: E0511000 80050053
	s_add_u32 m0, 0xe00, s49                                   // 0000000039A8: 807C31FF 00000E00
	buffer_load_dword v84, s[20:23], 0 offen lds               // 0000000039B0: E0511000 80050054
	s_add_u32 m0, 0xf00, s49                                   // 0000000039B8: 807C31FF 00000F00
	buffer_load_dword v85, s[20:23], 0 offen lds               // 0000000039C0: E0511000 80050055
	s_add_u32 m0, 0x1000, s49                                  // 0000000039C8: 807C31FF 00001000
	buffer_load_dword v86, s[20:23], 0 offen lds               // 0000000039D0: E0511000 80050056
	s_add_u32 m0, 0x1100, s49                                  // 0000000039D8: 807C31FF 00001100
	buffer_load_dword v87, s[20:23], 0 offen lds               // 0000000039E0: E0511000 80050057
	s_add_u32 m0, 0x1200, s49                                  // 0000000039E8: 807C31FF 00001200
	buffer_load_dword v88, s[20:23], 0 offen lds               // 0000000039F0: E0511000 80050058
	s_add_u32 m0, 0x1300, s49                                  // 0000000039F8: 807C31FF 00001300
	buffer_load_dword v89, s[20:23], 0 offen lds               // 000000003A00: E0511000 80050059
	s_add_u32 m0, 0, s50                                       // 000000003A08: 807C3280
	s_add_u32 s20, s57, s20                                    // 000000003A0C: 80141439
	s_addc_u32 s21, 0, s21                                     // 000000003A10: 82151580
	buffer_load_dword v50, v30, s[28:31], 0 offen              // 000000003A14: E0501000 8007321E
	buffer_load_dword v51, v31, s[28:31], 0 offen              // 000000003A1C: E0501000 8007331F
	buffer_load_dword v52, v32, s[28:31], 0 offen              // 000000003A24: E0501000 80073420
	buffer_load_dword v53, v33, s[28:31], 0 offen              // 000000003A2C: E0501000 80073521
	buffer_load_dword v54, v34, s[28:31], 0 offen              // 000000003A34: E0501000 80073622
	buffer_load_dword v55, v35, s[28:31], 0 offen              // 000000003A3C: E0501000 80073723
	buffer_load_dword v56, v36, s[28:31], 0 offen              // 000000003A44: E0501000 80073824
	buffer_load_dword v57, v37, s[28:31], 0 offen              // 000000003A4C: E0501000 80073925
	buffer_load_dword v58, v38, s[28:31], 0 offen              // 000000003A54: E0501000 80073A26
	buffer_load_dword v59, v39, s[28:31], 0 offen              // 000000003A5C: E0501000 80073B27
	s_add_u32 s28, s3, s28                                     // 000000003A64: 801C1C03
	s_addc_u32 s29, 0, s29                                     // 000000003A68: 821D1D80
	buffer_load_dwordx4 a[176:179], v90, s[84:87], 0 offen     // 000000003A6C: E05C1000 8095B05A
	buffer_load_dwordx4 a[180:183], v90, s[84:87], 0 offen offset:1024// 000000003A74: E05C1400 8095B45A
	buffer_load_dwordx4 a[184:187], v91, s[84:87], 0 offen     // 000000003A7C: E05C1000 8095B85B
	buffer_load_dwordx4 a[188:191], v91, s[84:87], 0 offen offset:1024// 000000003A84: E05C1400 8095BC5B
	s_add_u32 s84, s83, s84                                    // 000000003A8C: 80545453
	s_addc_u32 s85, 0, s85                                     // 000000003A90: 82555580
	buffer_load_dword v27, v23, s[32:35], 0 offen              // 000000003A94: E0501000 80081B17
	s_add_u32 s32, s4, s32                                     // 000000003A9C: 80202004
	s_addc_u32 s33, 0, s33                                     // 000000003AA0: 82212180
	s_waitcnt vmcnt(50)                                        // 000000003AA4: BF8CCF72
	s_barrier                                                  // 000000003AA8: BF8A0000
	ds_read_b128 a[0:3], v2                                    // 000000003AAC: DBFE0000 00000002
	ds_read_b128 a[4:7], v2 offset:64                          // 000000003AB4: DBFE0040 04000002
	ds_read_b128 a[8:11], v2 offset:512                        // 000000003ABC: DBFE0200 08000002
	ds_read_b128 a[12:15], v2 offset:576                       // 000000003AC4: DBFE0240 0C000002
	ds_read_b128 a[16:19], v2 offset:1024                      // 000000003ACC: DBFE0400 10000002
	ds_read_b128 a[20:23], v2 offset:1088                      // 000000003AD4: DBFE0440 14000002
	ds_read_b128 a[24:27], v2 offset:1536                      // 000000003ADC: DBFE0600 18000002
	ds_read_b128 a[28:31], v2 offset:1600                      // 000000003AE4: DBFE0640 1C000002
	ds_read_b128 a[32:35], v2 offset:2048                      // 000000003AEC: DBFE0800 20000002
	ds_read_b128 a[36:39], v2 offset:2112                      // 000000003AF4: DBFE0840 24000002
	ds_read_b128 a[40:43], v2 offset:2560                      // 000000003AFC: DBFE0A00 28000002
	ds_read_b128 a[44:47], v2 offset:2624                      // 000000003B04: DBFE0A40 2C000002
	ds_read_b128 a[48:51], v2 offset:3072                      // 000000003B0C: DBFE0C00 30000002
	ds_read_b128 a[52:55], v2 offset:3136                      // 000000003B14: DBFE0C40 34000002
	ds_read_b128 a[56:59], v2 offset:3584                      // 000000003B1C: DBFE0E00 38000002
	ds_read_b128 a[60:63], v2 offset:3648                      // 000000003B24: DBFE0E40 3C000002
	ds_read_b128 a[64:67], v2 offset:4096                      // 000000003B2C: DBFE1000 40000002
	ds_read_b128 a[68:71], v2 offset:4160                      // 000000003B34: DBFE1040 44000002
	ds_read_b128 a[72:75], v2 offset:4608                      // 000000003B3C: DBFE1200 48000002
	ds_read_b128 a[76:79], v2 offset:4672                      // 000000003B44: DBFE1240 4C000002
	s_cmp_lt_i32 s7, 2                                         // 000000003B4C: BF048207
	s_cbranch_scc0 label_3008                                  // 000000003B50: BF842BB0

0000000000003b54 <label_0455>:
	s_waitcnt vmcnt(35) lgkmcnt(0)                             // 000000003B54: BF8C8073
	v_mul_f32_dpp v4, v24, v40 row_newbcast:0 row_mask:0xf bank_mask:0xf// 000000003B58: 0A0850FA FF015018
	v_mfma_f32_16x16x32_fp8_fp8 v[8:11], a[160:161], a[0:1], 0 // 000000003B60: D3F30008 1A0201A0
	buffer_load_dword v25, v22, s[32:35], 0 offen              // 000000003B68: E0501000 80081916
	v_mfma_f32_16x16x32_fp8_fp8 v[8:11], a[162:163], a[2:3], v[8:11]// 000000003B70: D3F30008 1C2205A2
	buffer_load_dwordx4 a[192:195], v90, s[24:27], 0 offen     // 000000003B78: E05C1000 8086C05A
	v_mfma_f32_16x16x32_fp8_fp8 v[8:11], a[164:165], a[4:5], v[8:11]// 000000003B80: D3F30008 1C2209A4
	v_mfma_f32_16x16x32_fp8_fp8 v[8:11], a[166:167], a[6:7], v[8:11]// 000000003B88: D3F30008 1C220DA6
	v_mfma_f32_16x16x32_fp8_fp8 v[12:15], a[168:169], a[0:1], 0// 000000003B90: D3F3000C 1A0201A8
	v_mfma_f32_16x16x32_fp8_fp8 v[12:15], a[170:171], a[2:3], v[12:15]// 000000003B98: D3F3000C 1C3205AA
	buffer_load_dwordx4 a[196:199], v90, s[24:27], 0 offen offset:1024// 000000003BA0: E05C1400 8086C45A
	v_mfma_f32_16x16x32_fp8_fp8 v[12:15], a[172:173], a[4:5], v[12:15]// 000000003BA8: D3F3000C 1C3209AC
	v_mfma_f32_16x16x32_fp8_fp8 v[12:15], a[174:175], a[6:7], v[12:15]// 000000003BB0: D3F3000C 1C320DAE
	v_fma_f32 v92, v8, v4, v92                                 // 000000003BB8: D1CB005C 05720908
	v_fma_f32 v93, v9, v4, v93                                 // 000000003BC0: D1CB005D 05760909
	v_fma_f32 v94, v10, v4, v94                                // 000000003BC8: D1CB005E 057A090A
	v_fma_f32 v95, v11, v4, v95                                // 000000003BD0: D1CB005F 057E090B
	v_mul_f32_dpp v6, v24, v41 row_newbcast:0 row_mask:0xf bank_mask:0xf// 000000003BD8: 0A0C52FA FF015018
	v_mfma_f32_16x16x32_fp8_fp8 v[8:11], a[160:161], a[8:9], 0 // 000000003BE0: D3F30008 1A0211A0
	v_mfma_f32_16x16x32_fp8_fp8 v[8:11], a[162:163], a[10:11], v[8:11]// 000000003BE8: D3F30008 1C2215A2
	buffer_load_dwordx4 a[200:203], v91, s[24:27], 0 offen     // 000000003BF0: E05C1000 8086C85B
	v_mfma_f32_16x16x32_fp8_fp8 v[8:11], a[164:165], a[12:13], v[8:11]// 000000003BF8: D3F30008 1C2219A4
	v_mfma_f32_16x16x32_fp8_fp8 v[8:11], a[166:167], a[14:15], v[8:11]// 000000003C00: D3F30008 1C221DA6
	v_fma_f32 v132, v12, v4, v132                              // 000000003C08: D1CB0084 0612090C
	v_fma_f32 v133, v13, v4, v133                              // 000000003C10: D1CB0085 0616090D
	v_fma_f32 v134, v14, v4, v134                              // 000000003C18: D1CB0086 061A090E
	v_fma_f32 v135, v15, v4, v135                              // 000000003C20: D1CB0087 061E090F
	v_mfma_f32_16x16x32_fp8_fp8 v[12:15], a[168:169], a[8:9], 0// 000000003C28: D3F3000C 1A0211A8
	v_mfma_f32_16x16x32_fp8_fp8 v[12:15], a[170:171], a[10:11], v[12:15]// 000000003C30: D3F3000C 1C3215AA
	buffer_load_dwordx4 a[204:207], v91, s[24:27], 0 offen offset:1024// 000000003C38: E05C1400 8086CC5B
	buffer_load_dword v70, s[20:23], 0 offen lds               // 000000003C40: E0511000 80050046
	s_add_u32 m0, 0x100, s50                                   // 000000003C48: 807C32FF 00000100
	v_mfma_f32_16x16x32_fp8_fp8 v[12:15], a[172:173], a[12:13], v[12:15]// 000000003C50: D3F3000C 1C3219AC
	v_mfma_f32_16x16x32_fp8_fp8 v[12:15], a[174:175], a[14:15], v[12:15]// 000000003C58: D3F3000C 1C321DAE
	buffer_load_dword v71, s[20:23], 0 offen lds               // 000000003C60: E0511000 80050047
	s_add_u32 m0, 0x200, s50                                   // 000000003C68: 807C32FF 00000200
	v_fma_f32 v96, v8, v6, v96                                 // 000000003C70: D1CB0060 05820D08
	v_fma_f32 v97, v9, v6, v97                                 // 000000003C78: D1CB0061 05860D09
	v_fma_f32 v98, v10, v6, v98                                // 000000003C80: D1CB0062 058A0D0A
	v_fma_f32 v99, v11, v6, v99                                // 000000003C88: D1CB0063 058E0D0B
	v_mul_f32_dpp v4, v24, v42 row_newbcast:0 row_mask:0xf bank_mask:0xf// 000000003C90: 0A0854FA FF015018
	v_mfma_f32_16x16x32_fp8_fp8 v[8:11], a[160:161], a[16:17], 0// 000000003C98: D3F30008 1A0221A0
	v_mfma_f32_16x16x32_fp8_fp8 v[8:11], a[162:163], a[18:19], v[8:11]// 000000003CA0: D3F30008 1C2225A2
	buffer_load_dword v72, s[20:23], 0 offen lds               // 000000003CA8: E0511000 80050048
	s_add_u32 m0, 0x300, s50                                   // 000000003CB0: 807C32FF 00000300
	v_mfma_f32_16x16x32_fp8_fp8 v[8:11], a[164:165], a[20:21], v[8:11]// 000000003CB8: D3F30008 1C2229A4
	v_mfma_f32_16x16x32_fp8_fp8 v[8:11], a[166:167], a[22:23], v[8:11]// 000000003CC0: D3F30008 1C222DA6
	buffer_load_dword v73, s[20:23], 0 offen lds               // 000000003CC8: E0511000 80050049
	s_add_u32 m0, 0x400, s50                                   // 000000003CD0: 807C32FF 00000400
	v_fma_f32 v136, v12, v6, v136                              // 000000003CD8: D1CB0088 06220D0C
	v_fma_f32 v137, v13, v6, v137                              // 000000003CE0: D1CB0089 06260D0D
	v_fma_f32 v138, v14, v6, v138                              // 000000003CE8: D1CB008A 062A0D0E
	v_fma_f32 v139, v15, v6, v139                              // 000000003CF0: D1CB008B 062E0D0F
	v_mfma_f32_16x16x32_fp8_fp8 v[12:15], a[168:169], a[16:17], 0// 000000003CF8: D3F3000C 1A0221A8
	v_mfma_f32_16x16x32_fp8_fp8 v[12:15], a[170:171], a[18:19], v[12:15]// 000000003D00: D3F3000C 1C3225AA
	buffer_load_dword v74, s[20:23], 0 offen lds               // 000000003D08: E0511000 8005004A
	s_add_u32 m0, 0x500, s50                                   // 000000003D10: 807C32FF 00000500
	v_mfma_f32_16x16x32_fp8_fp8 v[12:15], a[172:173], a[20:21], v[12:15]// 000000003D18: D3F3000C 1C3229AC
	v_mfma_f32_16x16x32_fp8_fp8 v[12:15], a[174:175], a[22:23], v[12:15]// 000000003D20: D3F3000C 1C322DAE
	buffer_load_dword v75, s[20:23], 0 offen lds               // 000000003D28: E0511000 8005004B
	s_add_u32 m0, 0x600, s50                                   // 000000003D30: 807C32FF 00000600
	v_fma_f32 v100, v8, v4, v100                               // 000000003D38: D1CB0064 05920908
	v_fma_f32 v101, v9, v4, v101                               // 000000003D40: D1CB0065 05960909
	v_fma_f32 v102, v10, v4, v102                              // 000000003D48: D1CB0066 059A090A
	v_fma_f32 v103, v11, v4, v103                              // 000000003D50: D1CB0067 059E090B
	v_mul_f32_dpp v6, v24, v43 row_newbcast:0 row_mask:0xf bank_mask:0xf// 000000003D58: 0A0C56FA FF015018
	v_mfma_f32_16x16x32_fp8_fp8 v[8:11], a[160:161], a[24:25], 0// 000000003D60: D3F30008 1A0231A0
	v_mfma_f32_16x16x32_fp8_fp8 v[8:11], a[162:163], a[26:27], v[8:11]// 000000003D68: D3F30008 1C2235A2
	buffer_load_dword v76, s[20:23], 0 offen lds               // 000000003D70: E0511000 8005004C
	s_add_u32 m0, 0x700, s50                                   // 000000003D78: 807C32FF 00000700
	v_mfma_f32_16x16x32_fp8_fp8 v[8:11], a[164:165], a[28:29], v[8:11]// 000000003D80: D3F30008 1C2239A4
	v_mfma_f32_16x16x32_fp8_fp8 v[8:11], a[166:167], a[30:31], v[8:11]// 000000003D88: D3F30008 1C223DA6
	buffer_load_dword v77, s[20:23], 0 offen lds               // 000000003D90: E0511000 8005004D
	s_add_u32 m0, 0x800, s50                                   // 000000003D98: 807C32FF 00000800
	v_fma_f32 v140, v12, v4, v140                              // 000000003DA0: D1CB008C 0632090C
	v_fma_f32 v141, v13, v4, v141                              // 000000003DA8: D1CB008D 0636090D
	v_fma_f32 v142, v14, v4, v142                              // 000000003DB0: D1CB008E 063A090E
	v_fma_f32 v143, v15, v4, v143                              // 000000003DB8: D1CB008F 063E090F
	v_mfma_f32_16x16x32_fp8_fp8 v[12:15], a[168:169], a[24:25], 0// 000000003DC0: D3F3000C 1A0231A8
	v_mfma_f32_16x16x32_fp8_fp8 v[12:15], a[170:171], a[26:27], v[12:15]// 000000003DC8: D3F3000C 1C3235AA
	buffer_load_dword v78, s[20:23], 0 offen lds               // 000000003DD0: E0511000 8005004E
	s_add_u32 m0, 0x900, s50                                   // 000000003DD8: 807C32FF 00000900
	v_mfma_f32_16x16x32_fp8_fp8 v[12:15], a[172:173], a[28:29], v[12:15]// 000000003DE0: D3F3000C 1C3239AC
	v_mfma_f32_16x16x32_fp8_fp8 v[12:15], a[174:175], a[30:31], v[12:15]// 000000003DE8: D3F3000C 1C323DAE
	buffer_load_dword v79, s[20:23], 0 offen lds               // 000000003DF0: E0511000 8005004F
	s_add_u32 m0, 0xa00, s50                                   // 000000003DF8: 807C32FF 00000A00
	v_fma_f32 v104, v8, v6, v104                               // 000000003E00: D1CB0068 05A20D08
	v_fma_f32 v105, v9, v6, v105                               // 000000003E08: D1CB0069 05A60D09
	v_fma_f32 v106, v10, v6, v106                              // 000000003E10: D1CB006A 05AA0D0A
	v_fma_f32 v107, v11, v6, v107                              // 000000003E18: D1CB006B 05AE0D0B
	v_mul_f32_dpp v4, v24, v44 row_newbcast:0 row_mask:0xf bank_mask:0xf// 000000003E20: 0A0858FA FF015018
	v_mfma_f32_16x16x32_fp8_fp8 v[8:11], a[160:161], a[32:33], 0// 000000003E28: D3F30008 1A0241A0
	v_mfma_f32_16x16x32_fp8_fp8 v[8:11], a[162:163], a[34:35], v[8:11]// 000000003E30: D3F30008 1C2245A2
	buffer_load_dword v80, s[20:23], 0 offen lds               // 000000003E38: E0511000 80050050
	s_add_u32 m0, 0xb00, s50                                   // 000000003E40: 807C32FF 00000B00
	v_mfma_f32_16x16x32_fp8_fp8 v[8:11], a[164:165], a[36:37], v[8:11]// 000000003E48: D3F30008 1C2249A4
	v_mfma_f32_16x16x32_fp8_fp8 v[8:11], a[166:167], a[38:39], v[8:11]// 000000003E50: D3F30008 1C224DA6
	buffer_load_dword v81, s[20:23], 0 offen lds               // 000000003E58: E0511000 80050051
	s_add_u32 m0, 0xc00, s50                                   // 000000003E60: 807C32FF 00000C00
	v_fma_f32 v144, v12, v6, v144                              // 000000003E68: D1CB0090 06420D0C
	v_fma_f32 v145, v13, v6, v145                              // 000000003E70: D1CB0091 06460D0D
	v_fma_f32 v146, v14, v6, v146                              // 000000003E78: D1CB0092 064A0D0E
	v_fma_f32 v147, v15, v6, v147                              // 000000003E80: D1CB0093 064E0D0F
	v_mfma_f32_16x16x32_fp8_fp8 v[12:15], a[168:169], a[32:33], 0// 000000003E88: D3F3000C 1A0241A8
	v_mfma_f32_16x16x32_fp8_fp8 v[12:15], a[170:171], a[34:35], v[12:15]// 000000003E90: D3F3000C 1C3245AA
	buffer_load_dword v82, s[20:23], 0 offen lds               // 000000003E98: E0511000 80050052
	s_add_u32 m0, 0xd00, s50                                   // 000000003EA0: 807C32FF 00000D00
	v_mfma_f32_16x16x32_fp8_fp8 v[12:15], a[172:173], a[36:37], v[12:15]// 000000003EA8: D3F3000C 1C3249AC
	v_mfma_f32_16x16x32_fp8_fp8 v[12:15], a[174:175], a[38:39], v[12:15]// 000000003EB0: D3F3000C 1C324DAE
	buffer_load_dword v83, s[20:23], 0 offen lds               // 000000003EB8: E0511000 80050053
	s_add_u32 m0, 0xe00, s50                                   // 000000003EC0: 807C32FF 00000E00
	v_fma_f32 v108, v8, v4, v108                               // 000000003EC8: D1CB006C 05B20908
	v_fma_f32 v109, v9, v4, v109                               // 000000003ED0: D1CB006D 05B60909
	v_fma_f32 v110, v10, v4, v110                              // 000000003ED8: D1CB006E 05BA090A
	v_fma_f32 v111, v11, v4, v111                              // 000000003EE0: D1CB006F 05BE090B
	v_mul_f32_dpp v6, v24, v45 row_newbcast:0 row_mask:0xf bank_mask:0xf// 000000003EE8: 0A0C5AFA FF015018
	v_mfma_f32_16x16x32_fp8_fp8 v[8:11], a[160:161], a[40:41], 0// 000000003EF0: D3F30008 1A0251A0
	v_mfma_f32_16x16x32_fp8_fp8 v[8:11], a[162:163], a[42:43], v[8:11]// 000000003EF8: D3F30008 1C2255A2
	buffer_load_dword v84, s[20:23], 0 offen lds               // 000000003F00: E0511000 80050054
	s_add_u32 m0, 0xf00, s50                                   // 000000003F08: 807C32FF 00000F00
	v_mfma_f32_16x16x32_fp8_fp8 v[8:11], a[164:165], a[44:45], v[8:11]// 000000003F10: D3F30008 1C2259A4
	v_mfma_f32_16x16x32_fp8_fp8 v[8:11], a[166:167], a[46:47], v[8:11]// 000000003F18: D3F30008 1C225DA6
	buffer_load_dword v85, s[20:23], 0 offen lds               // 000000003F20: E0511000 80050055
	s_add_u32 m0, 0x1000, s50                                  // 000000003F28: 807C32FF 00001000
	v_fma_f32 v148, v12, v4, v148                              // 000000003F30: D1CB0094 0652090C
	v_fma_f32 v149, v13, v4, v149                              // 000000003F38: D1CB0095 0656090D
	v_fma_f32 v150, v14, v4, v150                              // 000000003F40: D1CB0096 065A090E
	v_fma_f32 v151, v15, v4, v151                              // 000000003F48: D1CB0097 065E090F
	v_mfma_f32_16x16x32_fp8_fp8 v[12:15], a[168:169], a[40:41], 0// 000000003F50: D3F3000C 1A0251A8
	v_mfma_f32_16x16x32_fp8_fp8 v[12:15], a[170:171], a[42:43], v[12:15]// 000000003F58: D3F3000C 1C3255AA
	buffer_load_dword v86, s[20:23], 0 offen lds               // 000000003F60: E0511000 80050056
	s_add_u32 m0, 0x1100, s50                                  // 000000003F68: 807C32FF 00001100
	v_mfma_f32_16x16x32_fp8_fp8 v[12:15], a[172:173], a[44:45], v[12:15]// 000000003F70: D3F3000C 1C3259AC
	v_mfma_f32_16x16x32_fp8_fp8 v[12:15], a[174:175], a[46:47], v[12:15]// 000000003F78: D3F3000C 1C325DAE
	buffer_load_dword v87, s[20:23], 0 offen lds               // 000000003F80: E0511000 80050057
	s_add_u32 m0, 0x1200, s50                                  // 000000003F88: 807C32FF 00001200
	v_fma_f32 v112, v8, v6, v112                               // 000000003F90: D1CB0070 05C20D08
	v_fma_f32 v113, v9, v6, v113                               // 000000003F98: D1CB0071 05C60D09
	v_fma_f32 v114, v10, v6, v114                              // 000000003FA0: D1CB0072 05CA0D0A
	v_fma_f32 v115, v11, v6, v115                              // 000000003FA8: D1CB0073 05CE0D0B
	v_mul_f32_dpp v4, v24, v46 row_newbcast:0 row_mask:0xf bank_mask:0xf// 000000003FB0: 0A085CFA FF015018
	v_mfma_f32_16x16x32_fp8_fp8 v[8:11], a[160:161], a[48:49], 0// 000000003FB8: D3F30008 1A0261A0
	v_mfma_f32_16x16x32_fp8_fp8 v[8:11], a[162:163], a[50:51], v[8:11]// 000000003FC0: D3F30008 1C2265A2
	buffer_load_dword v88, s[20:23], 0 offen lds               // 000000003FC8: E0511000 80050058
	s_add_u32 m0, 0x1300, s50                                  // 000000003FD0: 807C32FF 00001300
	v_mfma_f32_16x16x32_fp8_fp8 v[8:11], a[164:165], a[52:53], v[8:11]// 000000003FD8: D3F30008 1C2269A4
	v_mfma_f32_16x16x32_fp8_fp8 v[8:11], a[166:167], a[54:55], v[8:11]// 000000003FE0: D3F30008 1C226DA6
	buffer_load_dword v89, s[20:23], 0 offen lds               // 000000003FE8: E0511000 80050059
	s_add_u32 m0, 0, s48                                       // 000000003FF0: 807C3080
	v_fma_f32 v152, v12, v6, v152                              // 000000003FF4: D1CB0098 06620D0C
	v_fma_f32 v153, v13, v6, v153                              // 000000003FFC: D1CB0099 06660D0D
	v_fma_f32 v154, v14, v6, v154                              // 000000004004: D1CB009A 066A0D0E
	v_fma_f32 v155, v15, v6, v155                              // 00000000400C: D1CB009B 066E0D0F
	v_mfma_f32_16x16x32_fp8_fp8 v[12:15], a[168:169], a[48:49], 0// 000000004014: D3F3000C 1A0261A8
	v_mfma_f32_16x16x32_fp8_fp8 v[12:15], a[170:171], a[50:51], v[12:15]// 00000000401C: D3F3000C 1C3265AA
	buffer_load_dword v60, v30, s[28:31], 0 offen              // 000000004024: E0501000 80073C1E
	v_mfma_f32_16x16x32_fp8_fp8 v[12:15], a[172:173], a[52:53], v[12:15]// 00000000402C: D3F3000C 1C3269AC
	v_mfma_f32_16x16x32_fp8_fp8 v[12:15], a[174:175], a[54:55], v[12:15]// 000000004034: D3F3000C 1C326DAE
	buffer_load_dword v61, v31, s[28:31], 0 offen              // 00000000403C: E0501000 80073D1F
	v_fma_f32 v116, v8, v4, v116                               // 000000004044: D1CB0074 05D20908
	v_fma_f32 v117, v9, v4, v117                               // 00000000404C: D1CB0075 05D60909
	v_fma_f32 v118, v10, v4, v118                              // 000000004054: D1CB0076 05DA090A
	v_fma_f32 v119, v11, v4, v119                              // 00000000405C: D1CB0077 05DE090B
	v_mul_f32_dpp v6, v24, v47 row_newbcast:0 row_mask:0xf bank_mask:0xf// 000000004064: 0A0C5EFA FF015018
	v_mfma_f32_16x16x32_fp8_fp8 v[8:11], a[160:161], a[56:57], 0// 00000000406C: D3F30008 1A0271A0
	v_mfma_f32_16x16x32_fp8_fp8 v[8:11], a[162:163], a[58:59], v[8:11]// 000000004074: D3F30008 1C2275A2
	buffer_load_dword v62, v32, s[28:31], 0 offen              // 00000000407C: E0501000 80073E20
	v_mfma_f32_16x16x32_fp8_fp8 v[8:11], a[164:165], a[60:61], v[8:11]// 000000004084: D3F30008 1C2279A4
	v_mfma_f32_16x16x32_fp8_fp8 v[8:11], a[166:167], a[62:63], v[8:11]// 00000000408C: D3F30008 1C227DA6
	buffer_load_dword v63, v33, s[28:31], 0 offen              // 000000004094: E0501000 80073F21
	v_fma_f32 v156, v12, v4, v156                              // 00000000409C: D1CB009C 0672090C
	v_fma_f32 v157, v13, v4, v157                              // 0000000040A4: D1CB009D 0676090D
	v_fma_f32 v158, v14, v4, v158                              // 0000000040AC: D1CB009E 067A090E
	v_fma_f32 v159, v15, v4, v159                              // 0000000040B4: D1CB009F 067E090F
	v_mfma_f32_16x16x32_fp8_fp8 v[12:15], a[168:169], a[56:57], 0// 0000000040BC: D3F3000C 1A0271A8
	v_mfma_f32_16x16x32_fp8_fp8 v[12:15], a[170:171], a[58:59], v[12:15]// 0000000040C4: D3F3000C 1C3275AA
	buffer_load_dword v64, v34, s[28:31], 0 offen              // 0000000040CC: E0501000 80074022
	v_mfma_f32_16x16x32_fp8_fp8 v[12:15], a[172:173], a[60:61], v[12:15]// 0000000040D4: D3F3000C 1C3279AC
	v_mfma_f32_16x16x32_fp8_fp8 v[12:15], a[174:175], a[62:63], v[12:15]// 0000000040DC: D3F3000C 1C327DAE
	buffer_load_dword v65, v35, s[28:31], 0 offen              // 0000000040E4: E0501000 80074123
	v_fma_f32 v120, v8, v6, v120                               // 0000000040EC: D1CB0078 05E20D08
	v_fma_f32 v121, v9, v6, v121                               // 0000000040F4: D1CB0079 05E60D09
	v_fma_f32 v122, v10, v6, v122                              // 0000000040FC: D1CB007A 05EA0D0A
	v_fma_f32 v123, v11, v6, v123                              // 000000004104: D1CB007B 05EE0D0B
	v_mul_f32_dpp v4, v24, v48 row_newbcast:0 row_mask:0xf bank_mask:0xf// 00000000410C: 0A0860FA FF015018
	v_mfma_f32_16x16x32_fp8_fp8 v[8:11], a[160:161], a[64:65], 0// 000000004114: D3F30008 1A0281A0
	v_mfma_f32_16x16x32_fp8_fp8 v[8:11], a[162:163], a[66:67], v[8:11]// 00000000411C: D3F30008 1C2285A2
	buffer_load_dword v66, v36, s[28:31], 0 offen              // 000000004124: E0501000 80074224
	v_mfma_f32_16x16x32_fp8_fp8 v[8:11], a[164:165], a[68:69], v[8:11]// 00000000412C: D3F30008 1C2289A4
	v_mfma_f32_16x16x32_fp8_fp8 v[8:11], a[166:167], a[70:71], v[8:11]// 000000004134: D3F30008 1C228DA6
	buffer_load_dword v67, v37, s[28:31], 0 offen              // 00000000413C: E0501000 80074325
	v_fma_f32 v160, v12, v6, v160                              // 000000004144: D1CB00A0 06820D0C
	v_fma_f32 v161, v13, v6, v161                              // 00000000414C: D1CB00A1 06860D0D
	v_fma_f32 v162, v14, v6, v162                              // 000000004154: D1CB00A2 068A0D0E
	v_fma_f32 v163, v15, v6, v163                              // 00000000415C: D1CB00A3 068E0D0F
	v_mfma_f32_16x16x32_fp8_fp8 v[12:15], a[168:169], a[64:65], 0// 000000004164: D3F3000C 1A0281A8
	v_mfma_f32_16x16x32_fp8_fp8 v[12:15], a[170:171], a[66:67], v[12:15]// 00000000416C: D3F3000C 1C3285AA
	buffer_load_dword v68, v38, s[28:31], 0 offen              // 000000004174: E0501000 80074426
	v_mfma_f32_16x16x32_fp8_fp8 v[12:15], a[172:173], a[68:69], v[12:15]// 00000000417C: D3F3000C 1C3289AC
	v_mfma_f32_16x16x32_fp8_fp8 v[12:15], a[174:175], a[70:71], v[12:15]// 000000004184: D3F3000C 1C328DAE
	buffer_load_dword v69, v39, s[28:31], 0 offen              // 00000000418C: E0501000 80074527
	v_fma_f32 v124, v8, v4, v124                               // 000000004194: D1CB007C 05F20908
	v_fma_f32 v125, v9, v4, v125                               // 00000000419C: D1CB007D 05F60909
	v_fma_f32 v126, v10, v4, v126                              // 0000000041A4: D1CB007E 05FA090A
	v_fma_f32 v127, v11, v4, v127                              // 0000000041AC: D1CB007F 05FE090B
	v_mul_f32_dpp v6, v24, v49 row_newbcast:0 row_mask:0xf bank_mask:0xf// 0000000041B4: 0A0C62FA FF015018
	v_mfma_f32_16x16x32_fp8_fp8 v[8:11], a[160:161], a[72:73], 0// 0000000041BC: D3F30008 1A0291A0
	v_mfma_f32_16x16x32_fp8_fp8 v[8:11], a[162:163], a[74:75], v[8:11]// 0000000041C4: D3F30008 1C2295A2
	v_mfma_f32_16x16x32_fp8_fp8 v[8:11], a[164:165], a[76:77], v[8:11]// 0000000041CC: D3F30008 1C2299A4
	v_mfma_f32_16x16x32_fp8_fp8 v[8:11], a[166:167], a[78:79], v[8:11]// 0000000041D4: D3F30008 1C229DA6
	v_fma_f32 v164, v12, v4, v164                              // 0000000041DC: D1CB00A4 0692090C
	v_fma_f32 v165, v13, v4, v165                              // 0000000041E4: D1CB00A5 0696090D
	v_fma_f32 v166, v14, v4, v166                              // 0000000041EC: D1CB00A6 069A090E
	v_fma_f32 v167, v15, v4, v167                              // 0000000041F4: D1CB00A7 069E090F
	v_mfma_f32_16x16x32_fp8_fp8 v[12:15], a[168:169], a[72:73], 0// 0000000041FC: D3F3000C 1A0291A8
	v_mfma_f32_16x16x32_fp8_fp8 v[12:15], a[170:171], a[74:75], v[12:15]// 000000004204: D3F3000C 1C3295AA
	v_mfma_f32_16x16x32_fp8_fp8 v[12:15], a[172:173], a[76:77], v[12:15]// 00000000420C: D3F3000C 1C3299AC
	v_mfma_f32_16x16x32_fp8_fp8 v[12:15], a[174:175], a[78:79], v[12:15]// 000000004214: D3F3000C 1C329DAE
	v_fma_f32 v128, v8, v6, v128                               // 00000000421C: D1CB0080 06020D08
	v_fma_f32 v129, v9, v6, v129                               // 000000004224: D1CB0081 06060D09
	v_fma_f32 v130, v10, v6, v130                              // 00000000422C: D1CB0082 060A0D0A
	v_fma_f32 v131, v11, v6, v131                              // 000000004234: D1CB0083 060E0D0B
	v_fma_f32 v168, v12, v6, v168                              // 00000000423C: D1CB00A8 06A20D0C
	v_fma_f32 v169, v13, v6, v169                              // 000000004244: D1CB00A9 06A60D0D
	v_fma_f32 v170, v14, v6, v170                              // 00000000424C: D1CB00AA 06AA0D0E
	v_fma_f32 v171, v15, v6, v171                              // 000000004254: D1CB00AB 06AE0D0F
	s_waitcnt vmcnt(35)                                        // 00000000425C: BF8C8F73
	s_barrier                                                  // 000000004260: BF8A0000
	v_mul_f32_dpp v4, v27, v40 row_newbcast:0 row_mask:0xf bank_mask:0xf// 000000004264: 0A0850FA FF01501B
	v_mfma_f32_16x16x32_fp8_fp8 v[8:11], a[176:177], a[0:1], 0 // 00000000426C: D3F30008 1A0201B0
	buffer_load_dword v28, v23, s[32:35], 0 offen              // 000000004274: E0501000 80081C17
	v_mfma_f32_16x16x32_fp8_fp8 v[8:11], a[178:179], a[2:3], v[8:11]// 00000000427C: D3F30008 1C2205B2
	buffer_load_dwordx4 a[160:163], v90, s[84:87], 0 offen     // 000000004284: E05C1000 8095A05A
	v_mfma_f32_16x16x32_fp8_fp8 v[8:11], a[180:181], a[4:5], v[8:11]// 00000000428C: D3F30008 1C2209B4
	v_mfma_f32_16x16x32_fp8_fp8 v[8:11], a[182:183], a[6:7], v[8:11]// 000000004294: D3F30008 1C220DB6
	ds_read_b128 a[80:83], v2 offset:20608                     // 00000000429C: DBFE5080 50000002
	ds_read_b128 a[84:87], v2 offset:20672                     // 0000000042A4: DBFE50C0 54000002
	v_mfma_f32_16x16x32_fp8_fp8 v[12:15], a[184:185], a[0:1], 0// 0000000042AC: D3F3000C 1A0201B8
	v_mfma_f32_16x16x32_fp8_fp8 v[12:15], a[186:187], a[2:3], v[12:15]// 0000000042B4: D3F3000C 1C3205BA
	buffer_load_dwordx4 a[164:167], v90, s[84:87], 0 offen offset:1024// 0000000042BC: E05C1400 8095A45A
	v_mfma_f32_16x16x32_fp8_fp8 v[12:15], a[188:189], a[4:5], v[12:15]// 0000000042C4: D3F3000C 1C3209BC
	v_mfma_f32_16x16x32_fp8_fp8 v[12:15], a[190:191], a[6:7], v[12:15]// 0000000042CC: D3F3000C 1C320DBE
	ds_read_b128 a[88:91], v2 offset:21120                     // 0000000042D4: DBFE5280 58000002
	ds_read_b128 a[92:95], v2 offset:21184                     // 0000000042DC: DBFE52C0 5C000002
	v_fma_f32 v172, v8, v4, v172                               // 0000000042E4: D1CB00AC 06B20908
	v_fma_f32 v173, v9, v4, v173                               // 0000000042EC: D1CB00AD 06B60909
	v_fma_f32 v174, v10, v4, v174                              // 0000000042F4: D1CB00AE 06BA090A
	v_fma_f32 v175, v11, v4, v175                              // 0000000042FC: D1CB00AF 06BE090B
	v_mul_f32_dpp v6, v27, v41 row_newbcast:0 row_mask:0xf bank_mask:0xf// 000000004304: 0A0C52FA FF01501B
	v_mfma_f32_16x16x32_fp8_fp8 v[8:11], a[176:177], a[8:9], 0 // 00000000430C: D3F30008 1A0211B0
	v_mfma_f32_16x16x32_fp8_fp8 v[8:11], a[178:179], a[10:11], v[8:11]// 000000004314: D3F30008 1C2215B2
	buffer_load_dwordx4 a[168:171], v91, s[84:87], 0 offen     // 00000000431C: E05C1000 8095A85B
	v_mfma_f32_16x16x32_fp8_fp8 v[8:11], a[180:181], a[12:13], v[8:11]// 000000004324: D3F30008 1C2219B4
	v_mfma_f32_16x16x32_fp8_fp8 v[8:11], a[182:183], a[14:15], v[8:11]// 00000000432C: D3F30008 1C221DB6
	ds_read_b128 a[96:99], v2 offset:21632                     // 000000004334: DBFE5480 60000002
	ds_read_b128 a[100:103], v2 offset:21696                   // 00000000433C: DBFE54C0 64000002
	v_fma_f32 v212, v12, v4, v212                              // 000000004344: D1CB00D4 0752090C
	v_fma_f32 v213, v13, v4, v213                              // 00000000434C: D1CB00D5 0756090D
	v_fma_f32 v214, v14, v4, v214                              // 000000004354: D1CB00D6 075A090E
	v_fma_f32 v215, v15, v4, v215                              // 00000000435C: D1CB00D7 075E090F
	v_mfma_f32_16x16x32_fp8_fp8 v[12:15], a[184:185], a[8:9], 0// 000000004364: D3F3000C 1A0211B8
	v_mfma_f32_16x16x32_fp8_fp8 v[12:15], a[186:187], a[10:11], v[12:15]// 00000000436C: D3F3000C 1C3215BA
	buffer_load_dwordx4 a[172:175], v91, s[84:87], 0 offen offset:1024// 000000004374: E05C1400 8095AC5B
	v_mfma_f32_16x16x32_fp8_fp8 v[12:15], a[188:189], a[12:13], v[12:15]// 00000000437C: D3F3000C 1C3219BC
	v_mfma_f32_16x16x32_fp8_fp8 v[12:15], a[190:191], a[14:15], v[12:15]// 000000004384: D3F3000C 1C321DBE
	ds_read_b128 a[104:107], v2 offset:22144                   // 00000000438C: DBFE5680 68000002
	ds_read_b128 a[108:111], v2 offset:22208                   // 000000004394: DBFE56C0 6C000002
	v_fma_f32 v176, v8, v6, v176                               // 00000000439C: D1CB00B0 06C20D08
	v_fma_f32 v177, v9, v6, v177                               // 0000000043A4: D1CB00B1 06C60D09
	v_fma_f32 v178, v10, v6, v178                              // 0000000043AC: D1CB00B2 06CA0D0A
	v_fma_f32 v179, v11, v6, v179                              // 0000000043B4: D1CB00B3 06CE0D0B
	v_mul_f32_dpp v4, v27, v42 row_newbcast:0 row_mask:0xf bank_mask:0xf// 0000000043BC: 0A0854FA FF01501B
	v_mfma_f32_16x16x32_fp8_fp8 v[8:11], a[176:177], a[16:17], 0// 0000000043C4: D3F30008 1A0221B0
	v_mfma_f32_16x16x32_fp8_fp8 v[8:11], a[178:179], a[18:19], v[8:11]// 0000000043CC: D3F30008 1C2225B2
	v_mfma_f32_16x16x32_fp8_fp8 v[8:11], a[180:181], a[20:21], v[8:11]// 0000000043D4: D3F30008 1C2229B4
	v_mfma_f32_16x16x32_fp8_fp8 v[8:11], a[182:183], a[22:23], v[8:11]// 0000000043DC: D3F30008 1C222DB6
	ds_read_b128 a[112:115], v2 offset:22656                   // 0000000043E4: DBFE5880 70000002
	ds_read_b128 a[116:119], v2 offset:22720                   // 0000000043EC: DBFE58C0 74000002
	v_fma_f32 v216, v12, v6, v216                              // 0000000043F4: D1CB00D8 07620D0C
	v_fma_f32 v217, v13, v6, v217                              // 0000000043FC: D1CB00D9 07660D0D
	v_fma_f32 v218, v14, v6, v218                              // 000000004404: D1CB00DA 076A0D0E
	v_fma_f32 v219, v15, v6, v219                              // 00000000440C: D1CB00DB 076E0D0F
	v_mfma_f32_16x16x32_fp8_fp8 v[12:15], a[184:185], a[16:17], 0// 000000004414: D3F3000C 1A0221B8
	v_mfma_f32_16x16x32_fp8_fp8 v[12:15], a[186:187], a[18:19], v[12:15]// 00000000441C: D3F3000C 1C3225BA
	v_mfma_f32_16x16x32_fp8_fp8 v[12:15], a[188:189], a[20:21], v[12:15]// 000000004424: D3F3000C 1C3229BC
	v_mfma_f32_16x16x32_fp8_fp8 v[12:15], a[190:191], a[22:23], v[12:15]// 00000000442C: D3F3000C 1C322DBE
	ds_read_b128 a[120:123], v2 offset:23168                   // 000000004434: DBFE5A80 78000002
	ds_read_b128 a[124:127], v2 offset:23232                   // 00000000443C: DBFE5AC0 7C000002
	v_fma_f32 v180, v8, v4, v180                               // 000000004444: D1CB00B4 06D20908
	v_fma_f32 v181, v9, v4, v181                               // 00000000444C: D1CB00B5 06D60909
	v_fma_f32 v182, v10, v4, v182                              // 000000004454: D1CB00B6 06DA090A
	v_fma_f32 v183, v11, v4, v183                              // 00000000445C: D1CB00B7 06DE090B
	v_mul_f32_dpp v6, v27, v43 row_newbcast:0 row_mask:0xf bank_mask:0xf// 000000004464: 0A0C56FA FF01501B
	v_mfma_f32_16x16x32_fp8_fp8 v[8:11], a[176:177], a[24:25], 0// 00000000446C: D3F30008 1A0231B0
	v_mfma_f32_16x16x32_fp8_fp8 v[8:11], a[178:179], a[26:27], v[8:11]// 000000004474: D3F30008 1C2235B2
	v_mfma_f32_16x16x32_fp8_fp8 v[8:11], a[180:181], a[28:29], v[8:11]// 00000000447C: D3F30008 1C2239B4
	v_mfma_f32_16x16x32_fp8_fp8 v[8:11], a[182:183], a[30:31], v[8:11]// 000000004484: D3F30008 1C223DB6
	ds_read_b128 a[128:131], v2 offset:23680                   // 00000000448C: DBFE5C80 80000002
	ds_read_b128 a[132:135], v2 offset:23744                   // 000000004494: DBFE5CC0 84000002
	v_fma_f32 v220, v12, v4, v220                              // 00000000449C: D1CB00DC 0772090C
	v_fma_f32 v221, v13, v4, v221                              // 0000000044A4: D1CB00DD 0776090D
	v_fma_f32 v222, v14, v4, v222                              // 0000000044AC: D1CB00DE 077A090E
	v_fma_f32 v223, v15, v4, v223                              // 0000000044B4: D1CB00DF 077E090F
	v_mfma_f32_16x16x32_fp8_fp8 v[12:15], a[184:185], a[24:25], 0// 0000000044BC: D3F3000C 1A0231B8
	v_mfma_f32_16x16x32_fp8_fp8 v[12:15], a[186:187], a[26:27], v[12:15]// 0000000044C4: D3F3000C 1C3235BA
	v_mfma_f32_16x16x32_fp8_fp8 v[12:15], a[188:189], a[28:29], v[12:15]// 0000000044CC: D3F3000C 1C3239BC
	v_mfma_f32_16x16x32_fp8_fp8 v[12:15], a[190:191], a[30:31], v[12:15]// 0000000044D4: D3F3000C 1C323DBE
	ds_read_b128 a[136:139], v2 offset:24192                   // 0000000044DC: DBFE5E80 88000002
	ds_read_b128 a[140:143], v2 offset:24256                   // 0000000044E4: DBFE5EC0 8C000002
	v_fma_f32 v184, v8, v6, v184                               // 0000000044EC: D1CB00B8 06E20D08
	v_fma_f32 v185, v9, v6, v185                               // 0000000044F4: D1CB00B9 06E60D09
	v_fma_f32 v186, v10, v6, v186                              // 0000000044FC: D1CB00BA 06EA0D0A
	v_fma_f32 v187, v11, v6, v187                              // 000000004504: D1CB00BB 06EE0D0B
	v_mul_f32_dpp v4, v27, v44 row_newbcast:0 row_mask:0xf bank_mask:0xf// 00000000450C: 0A0858FA FF01501B
	v_mfma_f32_16x16x32_fp8_fp8 v[8:11], a[176:177], a[32:33], 0// 000000004514: D3F30008 1A0241B0
	v_mfma_f32_16x16x32_fp8_fp8 v[8:11], a[178:179], a[34:35], v[8:11]// 00000000451C: D3F30008 1C2245B2
	v_mfma_f32_16x16x32_fp8_fp8 v[8:11], a[180:181], a[36:37], v[8:11]// 000000004524: D3F30008 1C2249B4
	v_mfma_f32_16x16x32_fp8_fp8 v[8:11], a[182:183], a[38:39], v[8:11]// 00000000452C: D3F30008 1C224DB6
	ds_read_b128 a[144:147], v2 offset:24704                   // 000000004534: DBFE6080 90000002
	ds_read_b128 a[148:151], v2 offset:24768                   // 00000000453C: DBFE60C0 94000002
	v_fma_f32 v224, v12, v6, v224                              // 000000004544: D1CB00E0 07820D0C
	v_fma_f32 v225, v13, v6, v225                              // 00000000454C: D1CB00E1 07860D0D
	v_fma_f32 v226, v14, v6, v226                              // 000000004554: D1CB00E2 078A0D0E
	v_fma_f32 v227, v15, v6, v227                              // 00000000455C: D1CB00E3 078E0D0F
	v_mfma_f32_16x16x32_fp8_fp8 v[12:15], a[184:185], a[32:33], 0// 000000004564: D3F3000C 1A0241B8
	v_mfma_f32_16x16x32_fp8_fp8 v[12:15], a[186:187], a[34:35], v[12:15]// 00000000456C: D3F3000C 1C3245BA
	v_mfma_f32_16x16x32_fp8_fp8 v[12:15], a[188:189], a[36:37], v[12:15]// 000000004574: D3F3000C 1C3249BC
	v_mfma_f32_16x16x32_fp8_fp8 v[12:15], a[190:191], a[38:39], v[12:15]// 00000000457C: D3F3000C 1C324DBE
	ds_read_b128 a[152:155], v2 offset:25216                   // 000000004584: DBFE6280 98000002
	ds_read_b128 a[156:159], v2 offset:25280                   // 00000000458C: DBFE62C0 9C000002
	v_fma_f32 v188, v8, v4, v188                               // 000000004594: D1CB00BC 06F20908
	v_fma_f32 v189, v9, v4, v189                               // 00000000459C: D1CB00BD 06F60909
	v_fma_f32 v190, v10, v4, v190                              // 0000000045A4: D1CB00BE 06FA090A
	v_fma_f32 v191, v11, v4, v191                              // 0000000045AC: D1CB00BF 06FE090B
	v_mul_f32_dpp v6, v27, v45 row_newbcast:0 row_mask:0xf bank_mask:0xf// 0000000045B4: 0A0C5AFA FF01501B
	v_mfma_f32_16x16x32_fp8_fp8 v[8:11], a[176:177], a[40:41], 0// 0000000045BC: D3F30008 1A0251B0
	v_mfma_f32_16x16x32_fp8_fp8 v[8:11], a[178:179], a[42:43], v[8:11]// 0000000045C4: D3F30008 1C2255B2
	v_mfma_f32_16x16x32_fp8_fp8 v[8:11], a[180:181], a[44:45], v[8:11]// 0000000045CC: D3F30008 1C2259B4
	v_mfma_f32_16x16x32_fp8_fp8 v[8:11], a[182:183], a[46:47], v[8:11]// 0000000045D4: D3F30008 1C225DB6
	v_fma_f32 v228, v12, v4, v228                              // 0000000045DC: D1CB00E4 0792090C
	v_fma_f32 v229, v13, v4, v229                              // 0000000045E4: D1CB00E5 0796090D
	v_fma_f32 v230, v14, v4, v230                              // 0000000045EC: D1CB00E6 079A090E
	v_fma_f32 v231, v15, v4, v231                              // 0000000045F4: D1CB00E7 079E090F
	v_mfma_f32_16x16x32_fp8_fp8 v[12:15], a[184:185], a[40:41], 0// 0000000045FC: D3F3000C 1A0251B8
	v_mfma_f32_16x16x32_fp8_fp8 v[12:15], a[186:187], a[42:43], v[12:15]// 000000004604: D3F3000C 1C3255BA
	v_mfma_f32_16x16x32_fp8_fp8 v[12:15], a[188:189], a[44:45], v[12:15]// 00000000460C: D3F3000C 1C3259BC
	v_mfma_f32_16x16x32_fp8_fp8 v[12:15], a[190:191], a[46:47], v[12:15]// 000000004614: D3F3000C 1C325DBE
	v_fma_f32 v192, v8, v6, v192                               // 00000000461C: D1CB00C0 07020D08
	v_fma_f32 v193, v9, v6, v193                               // 000000004624: D1CB00C1 07060D09
	v_fma_f32 v194, v10, v6, v194                              // 00000000462C: D1CB00C2 070A0D0A
	v_fma_f32 v195, v11, v6, v195                              // 000000004634: D1CB00C3 070E0D0B
	v_mul_f32_dpp v4, v27, v46 row_newbcast:0 row_mask:0xf bank_mask:0xf// 00000000463C: 0A085CFA FF01501B
	v_mfma_f32_16x16x32_fp8_fp8 v[8:11], a[176:177], a[48:49], 0// 000000004644: D3F30008 1A0261B0
	v_mfma_f32_16x16x32_fp8_fp8 v[8:11], a[178:179], a[50:51], v[8:11]// 00000000464C: D3F30008 1C2265B2
	v_mfma_f32_16x16x32_fp8_fp8 v[8:11], a[180:181], a[52:53], v[8:11]// 000000004654: D3F30008 1C2269B4
	v_mfma_f32_16x16x32_fp8_fp8 v[8:11], a[182:183], a[54:55], v[8:11]// 00000000465C: D3F30008 1C226DB6
	v_fma_f32 v232, v12, v6, v232                              // 000000004664: D1CB00E8 07A20D0C
	v_fma_f32 v233, v13, v6, v233                              // 00000000466C: D1CB00E9 07A60D0D
	v_fma_f32 v234, v14, v6, v234                              // 000000004674: D1CB00EA 07AA0D0E
	v_fma_f32 v235, v15, v6, v235                              // 00000000467C: D1CB00EB 07AE0D0F
	v_mfma_f32_16x16x32_fp8_fp8 v[12:15], a[184:185], a[48:49], 0// 000000004684: D3F3000C 1A0261B8
	v_mfma_f32_16x16x32_fp8_fp8 v[12:15], a[186:187], a[50:51], v[12:15]// 00000000468C: D3F3000C 1C3265BA
	v_mfma_f32_16x16x32_fp8_fp8 v[12:15], a[188:189], a[52:53], v[12:15]// 000000004694: D3F3000C 1C3269BC
	v_mfma_f32_16x16x32_fp8_fp8 v[12:15], a[190:191], a[54:55], v[12:15]// 00000000469C: D3F3000C 1C326DBE
	v_fma_f32 v196, v8, v4, v196                               // 0000000046A4: D1CB00C4 07120908
	v_fma_f32 v197, v9, v4, v197                               // 0000000046AC: D1CB00C5 07160909
	v_fma_f32 v198, v10, v4, v198                              // 0000000046B4: D1CB00C6 071A090A
	v_fma_f32 v199, v11, v4, v199                              // 0000000046BC: D1CB00C7 071E090B
	v_mul_f32_dpp v6, v27, v47 row_newbcast:0 row_mask:0xf bank_mask:0xf// 0000000046C4: 0A0C5EFA FF01501B
	v_mfma_f32_16x16x32_fp8_fp8 v[8:11], a[176:177], a[56:57], 0// 0000000046CC: D3F30008 1A0271B0
	v_mfma_f32_16x16x32_fp8_fp8 v[8:11], a[178:179], a[58:59], v[8:11]// 0000000046D4: D3F30008 1C2275B2
	v_mfma_f32_16x16x32_fp8_fp8 v[8:11], a[180:181], a[60:61], v[8:11]// 0000000046DC: D3F30008 1C2279B4
	v_mfma_f32_16x16x32_fp8_fp8 v[8:11], a[182:183], a[62:63], v[8:11]// 0000000046E4: D3F30008 1C227DB6
	v_fma_f32 v236, v12, v4, v236                              // 0000000046EC: D1CB00EC 07B2090C
	v_fma_f32 v237, v13, v4, v237                              // 0000000046F4: D1CB00ED 07B6090D
	v_fma_f32 v238, v14, v4, v238                              // 0000000046FC: D1CB00EE 07BA090E
	v_fma_f32 v239, v15, v4, v239                              // 000000004704: D1CB00EF 07BE090F
	v_mfma_f32_16x16x32_fp8_fp8 v[12:15], a[184:185], a[56:57], 0// 00000000470C: D3F3000C 1A0271B8
	v_mfma_f32_16x16x32_fp8_fp8 v[12:15], a[186:187], a[58:59], v[12:15]// 000000004714: D3F3000C 1C3275BA
	v_mfma_f32_16x16x32_fp8_fp8 v[12:15], a[188:189], a[60:61], v[12:15]// 00000000471C: D3F3000C 1C3279BC
	v_mfma_f32_16x16x32_fp8_fp8 v[12:15], a[190:191], a[62:63], v[12:15]// 000000004724: D3F3000C 1C327DBE
	v_fma_f32 v200, v8, v6, v200                               // 00000000472C: D1CB00C8 07220D08
	v_fma_f32 v201, v9, v6, v201                               // 000000004734: D1CB00C9 07260D09
	v_fma_f32 v202, v10, v6, v202                              // 00000000473C: D1CB00CA 072A0D0A
	v_fma_f32 v203, v11, v6, v203                              // 000000004744: D1CB00CB 072E0D0B
	v_mul_f32_dpp v4, v27, v48 row_newbcast:0 row_mask:0xf bank_mask:0xf// 00000000474C: 0A0860FA FF01501B
	v_mfma_f32_16x16x32_fp8_fp8 v[8:11], a[176:177], a[64:65], 0// 000000004754: D3F30008 1A0281B0
	v_mfma_f32_16x16x32_fp8_fp8 v[8:11], a[178:179], a[66:67], v[8:11]// 00000000475C: D3F30008 1C2285B2
	v_mfma_f32_16x16x32_fp8_fp8 v[8:11], a[180:181], a[68:69], v[8:11]// 000000004764: D3F30008 1C2289B4
	v_mfma_f32_16x16x32_fp8_fp8 v[8:11], a[182:183], a[70:71], v[8:11]// 00000000476C: D3F30008 1C228DB6
	v_fma_f32 v240, v12, v6, v240                              // 000000004774: D1CB00F0 07C20D0C
	v_fma_f32 v241, v13, v6, v241                              // 00000000477C: D1CB00F1 07C60D0D
	v_fma_f32 v242, v14, v6, v242                              // 000000004784: D1CB00F2 07CA0D0E
	v_fma_f32 v243, v15, v6, v243                              // 00000000478C: D1CB00F3 07CE0D0F
	v_mfma_f32_16x16x32_fp8_fp8 v[12:15], a[184:185], a[64:65], 0// 000000004794: D3F3000C 1A0281B8
	v_mfma_f32_16x16x32_fp8_fp8 v[12:15], a[186:187], a[66:67], v[12:15]// 00000000479C: D3F3000C 1C3285BA
	v_mfma_f32_16x16x32_fp8_fp8 v[12:15], a[188:189], a[68:69], v[12:15]// 0000000047A4: D3F3000C 1C3289BC
	v_mfma_f32_16x16x32_fp8_fp8 v[12:15], a[190:191], a[70:71], v[12:15]// 0000000047AC: D3F3000C 1C328DBE
	v_fma_f32 v204, v8, v4, v204                               // 0000000047B4: D1CB00CC 07320908
	v_fma_f32 v205, v9, v4, v205                               // 0000000047BC: D1CB00CD 07360909
	v_fma_f32 v206, v10, v4, v206                              // 0000000047C4: D1CB00CE 073A090A
	v_fma_f32 v207, v11, v4, v207                              // 0000000047CC: D1CB00CF 073E090B
	v_mul_f32_dpp v6, v27, v49 row_newbcast:0 row_mask:0xf bank_mask:0xf// 0000000047D4: 0A0C62FA FF01501B
	v_mfma_f32_16x16x32_fp8_fp8 v[8:11], a[176:177], a[72:73], 0// 0000000047DC: D3F30008 1A0291B0
	s_add_u32 s60, 0x180, s80                                  // 0000000047E4: 803C50FF 00000180
	s_cmp_lt_u32 s60, s81                                      // 0000000047EC: BF0A513C
	s_cselect_b32 s57, s57, 0                                  // 0000000047F0: 85398039
	s_cselect_b32 s3, s3, 0                                    // 0000000047F4: 85038003
	v_mfma_f32_16x16x32_fp8_fp8 v[8:11], a[178:179], a[74:75], v[8:11]// 0000000047F8: D3F30008 1C2295B2
	s_add_u32 s60, 0x100, s80                                  // 000000004800: 803C50FF 00000100
	s_cmp_lt_u32 s60, s81                                      // 000000004808: BF0A513C
	s_cselect_b32 s58, s58, 0                                  // 00000000480C: 853A803A
	v_mfma_f32_16x16x32_fp8_fp8 v[8:11], a[180:181], a[76:77], v[8:11]// 000000004810: D3F30008 1C2299B4
	s_add_u32 s60, 0x100, s80                                  // 000000004818: 803C50FF 00000100
	s_cmp_lt_u32 s60, s81                                      // 000000004820: BF0A513C
	s_cselect_b32 s83, s83, 0                                  // 000000004824: 85538053
	s_cselect_b32 s4, s4, 0                                    // 000000004828: 85048004
	v_mfma_f32_16x16x32_fp8_fp8 v[8:11], a[182:183], a[78:79], v[8:11]// 00000000482C: D3F30008 1C229DB6
	s_add_u32 s24, s58, s24                                    // 000000004834: 8018183A
	s_addc_u32 s25, 0, s25                                     // 000000004838: 82191980
	v_fma_f32 v244, v12, v4, v244                              // 00000000483C: D1CB00F4 07D2090C
	v_fma_f32 v245, v13, v4, v245                              // 000000004844: D1CB00F5 07D6090D
	v_fma_f32 v246, v14, v4, v246                              // 00000000484C: D1CB00F6 07DA090E
	v_fma_f32 v247, v15, v4, v247                              // 000000004854: D1CB00F7 07DE090F
	v_mfma_f32_16x16x32_fp8_fp8 v[12:15], a[184:185], a[72:73], 0// 00000000485C: D3F3000C 1A0291B8
	s_add_u32 s20, s57, s20                                    // 000000004864: 80141439
	s_addc_u32 s21, 0, s21                                     // 000000004868: 82151580
	s_add_u32 s28, s3, s28                                     // 00000000486C: 801C1C03
	s_addc_u32 s29, 0, s29                                     // 000000004870: 821D1D80
	v_mfma_f32_16x16x32_fp8_fp8 v[12:15], a[186:187], a[74:75], v[12:15]// 000000004874: D3F3000C 1C3295BA
	s_add_u32 s84, s83, s84                                    // 00000000487C: 80545453
	s_addc_u32 s85, 0, s85                                     // 000000004880: 82555580
	v_mfma_f32_16x16x32_fp8_fp8 v[12:15], a[188:189], a[76:77], v[12:15]// 000000004884: D3F3000C 1C3299BC
	s_add_u32 s32, s4, s32                                     // 00000000488C: 80202004
	s_addc_u32 s33, 0, s33                                     // 000000004890: 82212180
	v_mfma_f32_16x16x32_fp8_fp8 v[12:15], a[190:191], a[78:79], v[12:15]// 000000004894: D3F3000C 1C329DBE
	v_fma_f32 v208, v8, v6, v208                               // 00000000489C: D1CB00D0 07420D08
	v_fma_f32 v209, v9, v6, v209                               // 0000000048A4: D1CB00D1 07460D09
	v_fma_f32 v210, v10, v6, v210                              // 0000000048AC: D1CB00D2 074A0D0A
	v_fma_f32 v211, v11, v6, v211                              // 0000000048B4: D1CB00D3 074E0D0B
	v_fma_f32 v248, v12, v6, v248                              // 0000000048BC: D1CB00F8 07E20D0C
	v_fma_f32 v249, v13, v6, v249                              // 0000000048C4: D1CB00F9 07E60D0D
	v_fma_f32 v250, v14, v6, v250                              // 0000000048CC: D1CB00FA 07EA0D0E
	v_fma_f32 v251, v15, v6, v251                              // 0000000048D4: D1CB00FB 07EE0D0F
	s_addk_i32 s80, 0x80                                       // 0000000048DC: B7500080
	s_cmp_lt_i32 s80, s81                                      // 0000000048E0: BF045150
	s_cbranch_scc0 label_18B4                                  // 0000000048E4: BF8410FA
	s_waitcnt vmcnt(35) lgkmcnt(0)                             // 0000000048E8: BF8C8073
	v_mul_f32_dpp v4, v25, v50 row_newbcast:0 row_mask:0xf bank_mask:0xf// 0000000048EC: 0A0864FA FF015019
	v_mfma_f32_16x16x32_fp8_fp8 v[8:11], a[192:193], a[80:81], 0// 0000000048F4: D3F30008 1A02A1C0
	buffer_load_dword v26, v22, s[32:35], 0 offen              // 0000000048FC: E0501000 80081A16
	v_mfma_f32_16x16x32_fp8_fp8 v[8:11], a[194:195], a[82:83], v[8:11]// 000000004904: D3F30008 1C22A5C2
	buffer_load_dwordx4 a[176:179], v90, s[24:27], 0 offen     // 00000000490C: E05C1000 8086B05A
	v_mfma_f32_16x16x32_fp8_fp8 v[8:11], a[196:197], a[84:85], v[8:11]// 000000004914: D3F30008 1C22A9C4
	v_mfma_f32_16x16x32_fp8_fp8 v[8:11], a[198:199], a[86:87], v[8:11]// 00000000491C: D3F30008 1C22ADC6
	v_mfma_f32_16x16x32_fp8_fp8 v[12:15], a[200:201], a[80:81], 0// 000000004924: D3F3000C 1A02A1C8
	v_mfma_f32_16x16x32_fp8_fp8 v[12:15], a[202:203], a[82:83], v[12:15]// 00000000492C: D3F3000C 1C32A5CA
	buffer_load_dwordx4 a[180:183], v90, s[24:27], 0 offen offset:1024// 000000004934: E05C1400 8086B45A
	v_mfma_f32_16x16x32_fp8_fp8 v[12:15], a[204:205], a[84:85], v[12:15]// 00000000493C: D3F3000C 1C32A9CC
	v_mfma_f32_16x16x32_fp8_fp8 v[12:15], a[206:207], a[86:87], v[12:15]// 000000004944: D3F3000C 1C32ADCE
	v_fma_f32 v92, v8, v4, v92                                 // 00000000494C: D1CB005C 05720908
	v_fma_f32 v93, v9, v4, v93                                 // 000000004954: D1CB005D 05760909
	v_fma_f32 v94, v10, v4, v94                                // 00000000495C: D1CB005E 057A090A
	v_fma_f32 v95, v11, v4, v95                                // 000000004964: D1CB005F 057E090B
	v_mul_f32_dpp v6, v25, v51 row_newbcast:0 row_mask:0xf bank_mask:0xf// 00000000496C: 0A0C66FA FF015019
	v_mfma_f32_16x16x32_fp8_fp8 v[8:11], a[192:193], a[88:89], 0// 000000004974: D3F30008 1A02B1C0
	v_mfma_f32_16x16x32_fp8_fp8 v[8:11], a[194:195], a[90:91], v[8:11]// 00000000497C: D3F30008 1C22B5C2
	buffer_load_dwordx4 a[184:187], v91, s[24:27], 0 offen     // 000000004984: E05C1000 8086B85B
	v_mfma_f32_16x16x32_fp8_fp8 v[8:11], a[196:197], a[92:93], v[8:11]// 00000000498C: D3F30008 1C22B9C4
	v_mfma_f32_16x16x32_fp8_fp8 v[8:11], a[198:199], a[94:95], v[8:11]// 000000004994: D3F30008 1C22BDC6
	v_fma_f32 v132, v12, v4, v132                              // 00000000499C: D1CB0084 0612090C
	v_fma_f32 v133, v13, v4, v133                              // 0000000049A4: D1CB0085 0616090D
	v_fma_f32 v134, v14, v4, v134                              // 0000000049AC: D1CB0086 061A090E
	v_fma_f32 v135, v15, v4, v135                              // 0000000049B4: D1CB0087 061E090F
	v_mfma_f32_16x16x32_fp8_fp8 v[12:15], a[200:201], a[88:89], 0// 0000000049BC: D3F3000C 1A02B1C8
	v_mfma_f32_16x16x32_fp8_fp8 v[12:15], a[202:203], a[90:91], v[12:15]// 0000000049C4: D3F3000C 1C32B5CA
	buffer_load_dwordx4 a[188:191], v91, s[24:27], 0 offen offset:1024// 0000000049CC: E05C1400 8086BC5B
	buffer_load_dword v70, s[20:23], 0 offen lds               // 0000000049D4: E0511000 80050046
	s_add_u32 m0, 0x100, s48                                   // 0000000049DC: 807C30FF 00000100
	v_mfma_f32_16x16x32_fp8_fp8 v[12:15], a[204:205], a[92:93], v[12:15]// 0000000049E4: D3F3000C 1C32B9CC
	v_mfma_f32_16x16x32_fp8_fp8 v[12:15], a[206:207], a[94:95], v[12:15]// 0000000049EC: D3F3000C 1C32BDCE
	buffer_load_dword v71, s[20:23], 0 offen lds               // 0000000049F4: E0511000 80050047
	s_add_u32 m0, 0x200, s48                                   // 0000000049FC: 807C30FF 00000200
	v_fma_f32 v96, v8, v6, v96                                 // 000000004A04: D1CB0060 05820D08
	v_fma_f32 v97, v9, v6, v97                                 // 000000004A0C: D1CB0061 05860D09
	v_fma_f32 v98, v10, v6, v98                                // 000000004A14: D1CB0062 058A0D0A
	v_fma_f32 v99, v11, v6, v99                                // 000000004A1C: D1CB0063 058E0D0B
	v_mul_f32_dpp v4, v25, v52 row_newbcast:0 row_mask:0xf bank_mask:0xf// 000000004A24: 0A0868FA FF015019
	v_mfma_f32_16x16x32_fp8_fp8 v[8:11], a[192:193], a[96:97], 0// 000000004A2C: D3F30008 1A02C1C0
	v_mfma_f32_16x16x32_fp8_fp8 v[8:11], a[194:195], a[98:99], v[8:11]// 000000004A34: D3F30008 1C22C5C2
	buffer_load_dword v72, s[20:23], 0 offen lds               // 000000004A3C: E0511000 80050048
	s_add_u32 m0, 0x300, s48                                   // 000000004A44: 807C30FF 00000300
	v_mfma_f32_16x16x32_fp8_fp8 v[8:11], a[196:197], a[100:101], v[8:11]// 000000004A4C: D3F30008 1C22C9C4
	v_mfma_f32_16x16x32_fp8_fp8 v[8:11], a[198:199], a[102:103], v[8:11]// 000000004A54: D3F30008 1C22CDC6
	buffer_load_dword v73, s[20:23], 0 offen lds               // 000000004A5C: E0511000 80050049
	s_add_u32 m0, 0x400, s48                                   // 000000004A64: 807C30FF 00000400
	v_fma_f32 v136, v12, v6, v136                              // 000000004A6C: D1CB0088 06220D0C
	v_fma_f32 v137, v13, v6, v137                              // 000000004A74: D1CB0089 06260D0D
	v_fma_f32 v138, v14, v6, v138                              // 000000004A7C: D1CB008A 062A0D0E
	v_fma_f32 v139, v15, v6, v139                              // 000000004A84: D1CB008B 062E0D0F
	v_mfma_f32_16x16x32_fp8_fp8 v[12:15], a[200:201], a[96:97], 0// 000000004A8C: D3F3000C 1A02C1C8
	v_mfma_f32_16x16x32_fp8_fp8 v[12:15], a[202:203], a[98:99], v[12:15]// 000000004A94: D3F3000C 1C32C5CA
	buffer_load_dword v74, s[20:23], 0 offen lds               // 000000004A9C: E0511000 8005004A
	s_add_u32 m0, 0x500, s48                                   // 000000004AA4: 807C30FF 00000500
	v_mfma_f32_16x16x32_fp8_fp8 v[12:15], a[204:205], a[100:101], v[12:15]// 000000004AAC: D3F3000C 1C32C9CC
	v_mfma_f32_16x16x32_fp8_fp8 v[12:15], a[206:207], a[102:103], v[12:15]// 000000004AB4: D3F3000C 1C32CDCE
	buffer_load_dword v75, s[20:23], 0 offen lds               // 000000004ABC: E0511000 8005004B
	s_add_u32 m0, 0x600, s48                                   // 000000004AC4: 807C30FF 00000600
	v_fma_f32 v100, v8, v4, v100                               // 000000004ACC: D1CB0064 05920908
	v_fma_f32 v101, v9, v4, v101                               // 000000004AD4: D1CB0065 05960909
	v_fma_f32 v102, v10, v4, v102                              // 000000004ADC: D1CB0066 059A090A
	v_fma_f32 v103, v11, v4, v103                              // 000000004AE4: D1CB0067 059E090B
	v_mul_f32_dpp v6, v25, v53 row_newbcast:0 row_mask:0xf bank_mask:0xf// 000000004AEC: 0A0C6AFA FF015019
	v_mfma_f32_16x16x32_fp8_fp8 v[8:11], a[192:193], a[104:105], 0// 000000004AF4: D3F30008 1A02D1C0
	v_mfma_f32_16x16x32_fp8_fp8 v[8:11], a[194:195], a[106:107], v[8:11]// 000000004AFC: D3F30008 1C22D5C2
	buffer_load_dword v76, s[20:23], 0 offen lds               // 000000004B04: E0511000 8005004C
	s_add_u32 m0, 0x700, s48                                   // 000000004B0C: 807C30FF 00000700
	v_mfma_f32_16x16x32_fp8_fp8 v[8:11], a[196:197], a[108:109], v[8:11]// 000000004B14: D3F30008 1C22D9C4
	v_mfma_f32_16x16x32_fp8_fp8 v[8:11], a[198:199], a[110:111], v[8:11]// 000000004B1C: D3F30008 1C22DDC6
	buffer_load_dword v77, s[20:23], 0 offen lds               // 000000004B24: E0511000 8005004D
	s_add_u32 m0, 0x800, s48                                   // 000000004B2C: 807C30FF 00000800
	v_fma_f32 v140, v12, v4, v140                              // 000000004B34: D1CB008C 0632090C
	v_fma_f32 v141, v13, v4, v141                              // 000000004B3C: D1CB008D 0636090D
	v_fma_f32 v142, v14, v4, v142                              // 000000004B44: D1CB008E 063A090E
	v_fma_f32 v143, v15, v4, v143                              // 000000004B4C: D1CB008F 063E090F
	v_mfma_f32_16x16x32_fp8_fp8 v[12:15], a[200:201], a[104:105], 0// 000000004B54: D3F3000C 1A02D1C8
	v_mfma_f32_16x16x32_fp8_fp8 v[12:15], a[202:203], a[106:107], v[12:15]// 000000004B5C: D3F3000C 1C32D5CA
	buffer_load_dword v78, s[20:23], 0 offen lds               // 000000004B64: E0511000 8005004E
	s_add_u32 m0, 0x900, s48                                   // 000000004B6C: 807C30FF 00000900
	v_mfma_f32_16x16x32_fp8_fp8 v[12:15], a[204:205], a[108:109], v[12:15]// 000000004B74: D3F3000C 1C32D9CC
	v_mfma_f32_16x16x32_fp8_fp8 v[12:15], a[206:207], a[110:111], v[12:15]// 000000004B7C: D3F3000C 1C32DDCE
	buffer_load_dword v79, s[20:23], 0 offen lds               // 000000004B84: E0511000 8005004F
	s_add_u32 m0, 0xa00, s48                                   // 000000004B8C: 807C30FF 00000A00
	v_fma_f32 v104, v8, v6, v104                               // 000000004B94: D1CB0068 05A20D08
	v_fma_f32 v105, v9, v6, v105                               // 000000004B9C: D1CB0069 05A60D09
	v_fma_f32 v106, v10, v6, v106                              // 000000004BA4: D1CB006A 05AA0D0A
	v_fma_f32 v107, v11, v6, v107                              // 000000004BAC: D1CB006B 05AE0D0B
	v_mul_f32_dpp v4, v25, v54 row_newbcast:0 row_mask:0xf bank_mask:0xf// 000000004BB4: 0A086CFA FF015019
	v_mfma_f32_16x16x32_fp8_fp8 v[8:11], a[192:193], a[112:113], 0// 000000004BBC: D3F30008 1A02E1C0
	v_mfma_f32_16x16x32_fp8_fp8 v[8:11], a[194:195], a[114:115], v[8:11]// 000000004BC4: D3F30008 1C22E5C2
	buffer_load_dword v80, s[20:23], 0 offen lds               // 000000004BCC: E0511000 80050050
	s_add_u32 m0, 0xb00, s48                                   // 000000004BD4: 807C30FF 00000B00
	v_mfma_f32_16x16x32_fp8_fp8 v[8:11], a[196:197], a[116:117], v[8:11]// 000000004BDC: D3F30008 1C22E9C4
	v_mfma_f32_16x16x32_fp8_fp8 v[8:11], a[198:199], a[118:119], v[8:11]// 000000004BE4: D3F30008 1C22EDC6
	buffer_load_dword v81, s[20:23], 0 offen lds               // 000000004BEC: E0511000 80050051
	s_add_u32 m0, 0xc00, s48                                   // 000000004BF4: 807C30FF 00000C00
	v_fma_f32 v144, v12, v6, v144                              // 000000004BFC: D1CB0090 06420D0C
	v_fma_f32 v145, v13, v6, v145                              // 000000004C04: D1CB0091 06460D0D
	v_fma_f32 v146, v14, v6, v146                              // 000000004C0C: D1CB0092 064A0D0E
	v_fma_f32 v147, v15, v6, v147                              // 000000004C14: D1CB0093 064E0D0F
	v_mfma_f32_16x16x32_fp8_fp8 v[12:15], a[200:201], a[112:113], 0// 000000004C1C: D3F3000C 1A02E1C8
	v_mfma_f32_16x16x32_fp8_fp8 v[12:15], a[202:203], a[114:115], v[12:15]// 000000004C24: D3F3000C 1C32E5CA
	buffer_load_dword v82, s[20:23], 0 offen lds               // 000000004C2C: E0511000 80050052
	s_add_u32 m0, 0xd00, s48                                   // 000000004C34: 807C30FF 00000D00
	v_mfma_f32_16x16x32_fp8_fp8 v[12:15], a[204:205], a[116:117], v[12:15]// 000000004C3C: D3F3000C 1C32E9CC
	v_mfma_f32_16x16x32_fp8_fp8 v[12:15], a[206:207], a[118:119], v[12:15]// 000000004C44: D3F3000C 1C32EDCE
	buffer_load_dword v83, s[20:23], 0 offen lds               // 000000004C4C: E0511000 80050053
	s_add_u32 m0, 0xe00, s48                                   // 000000004C54: 807C30FF 00000E00
	v_fma_f32 v108, v8, v4, v108                               // 000000004C5C: D1CB006C 05B20908
	v_fma_f32 v109, v9, v4, v109                               // 000000004C64: D1CB006D 05B60909
	v_fma_f32 v110, v10, v4, v110                              // 000000004C6C: D1CB006E 05BA090A
	v_fma_f32 v111, v11, v4, v111                              // 000000004C74: D1CB006F 05BE090B
	v_mul_f32_dpp v6, v25, v55 row_newbcast:0 row_mask:0xf bank_mask:0xf// 000000004C7C: 0A0C6EFA FF015019
	v_mfma_f32_16x16x32_fp8_fp8 v[8:11], a[192:193], a[120:121], 0// 000000004C84: D3F30008 1A02F1C0
	v_mfma_f32_16x16x32_fp8_fp8 v[8:11], a[194:195], a[122:123], v[8:11]// 000000004C8C: D3F30008 1C22F5C2
	buffer_load_dword v84, s[20:23], 0 offen lds               // 000000004C94: E0511000 80050054
	s_add_u32 m0, 0xf00, s48                                   // 000000004C9C: 807C30FF 00000F00
	v_mfma_f32_16x16x32_fp8_fp8 v[8:11], a[196:197], a[124:125], v[8:11]// 000000004CA4: D3F30008 1C22F9C4
	v_mfma_f32_16x16x32_fp8_fp8 v[8:11], a[198:199], a[126:127], v[8:11]// 000000004CAC: D3F30008 1C22FDC6
	buffer_load_dword v85, s[20:23], 0 offen lds               // 000000004CB4: E0511000 80050055
	s_add_u32 m0, 0x1000, s48                                  // 000000004CBC: 807C30FF 00001000
	v_fma_f32 v148, v12, v4, v148                              // 000000004CC4: D1CB0094 0652090C
	v_fma_f32 v149, v13, v4, v149                              // 000000004CCC: D1CB0095 0656090D
	v_fma_f32 v150, v14, v4, v150                              // 000000004CD4: D1CB0096 065A090E
	v_fma_f32 v151, v15, v4, v151                              // 000000004CDC: D1CB0097 065E090F
	v_mfma_f32_16x16x32_fp8_fp8 v[12:15], a[200:201], a[120:121], 0// 000000004CE4: D3F3000C 1A02F1C8
	v_mfma_f32_16x16x32_fp8_fp8 v[12:15], a[202:203], a[122:123], v[12:15]// 000000004CEC: D3F3000C 1C32F5CA
	buffer_load_dword v86, s[20:23], 0 offen lds               // 000000004CF4: E0511000 80050056
	s_add_u32 m0, 0x1100, s48                                  // 000000004CFC: 807C30FF 00001100
	v_mfma_f32_16x16x32_fp8_fp8 v[12:15], a[204:205], a[124:125], v[12:15]// 000000004D04: D3F3000C 1C32F9CC
	v_mfma_f32_16x16x32_fp8_fp8 v[12:15], a[206:207], a[126:127], v[12:15]// 000000004D0C: D3F3000C 1C32FDCE
	buffer_load_dword v87, s[20:23], 0 offen lds               // 000000004D14: E0511000 80050057
	s_add_u32 m0, 0x1200, s48                                  // 000000004D1C: 807C30FF 00001200
	v_fma_f32 v112, v8, v6, v112                               // 000000004D24: D1CB0070 05C20D08
	v_fma_f32 v113, v9, v6, v113                               // 000000004D2C: D1CB0071 05C60D09
	v_fma_f32 v114, v10, v6, v114                              // 000000004D34: D1CB0072 05CA0D0A
	v_fma_f32 v115, v11, v6, v115                              // 000000004D3C: D1CB0073 05CE0D0B
	v_mul_f32_dpp v4, v25, v56 row_newbcast:0 row_mask:0xf bank_mask:0xf// 000000004D44: 0A0870FA FF015019
	v_mfma_f32_16x16x32_fp8_fp8 v[8:11], a[192:193], a[128:129], 0// 000000004D4C: D3F30008 1A0301C0
	v_mfma_f32_16x16x32_fp8_fp8 v[8:11], a[194:195], a[130:131], v[8:11]// 000000004D54: D3F30008 1C2305C2
	buffer_load_dword v88, s[20:23], 0 offen lds               // 000000004D5C: E0511000 80050058
	s_add_u32 m0, 0x1300, s48                                  // 000000004D64: 807C30FF 00001300
	v_mfma_f32_16x16x32_fp8_fp8 v[8:11], a[196:197], a[132:133], v[8:11]// 000000004D6C: D3F30008 1C2309C4
	v_mfma_f32_16x16x32_fp8_fp8 v[8:11], a[198:199], a[134:135], v[8:11]// 000000004D74: D3F30008 1C230DC6
	buffer_load_dword v89, s[20:23], 0 offen lds               // 000000004D7C: E0511000 80050059
	s_add_u32 m0, 0, s49                                       // 000000004D84: 807C3180
	v_fma_f32 v152, v12, v6, v152                              // 000000004D88: D1CB0098 06620D0C
	v_fma_f32 v153, v13, v6, v153                              // 000000004D90: D1CB0099 06660D0D
	v_fma_f32 v154, v14, v6, v154                              // 000000004D98: D1CB009A 066A0D0E
	v_fma_f32 v155, v15, v6, v155                              // 000000004DA0: D1CB009B 066E0D0F
	v_mfma_f32_16x16x32_fp8_fp8 v[12:15], a[200:201], a[128:129], 0// 000000004DA8: D3F3000C 1A0301C8
	v_mfma_f32_16x16x32_fp8_fp8 v[12:15], a[202:203], a[130:131], v[12:15]// 000000004DB0: D3F3000C 1C3305CA
	buffer_load_dword v40, v30, s[28:31], 0 offen              // 000000004DB8: E0501000 8007281E
	v_mfma_f32_16x16x32_fp8_fp8 v[12:15], a[204:205], a[132:133], v[12:15]// 000000004DC0: D3F3000C 1C3309CC
	v_mfma_f32_16x16x32_fp8_fp8 v[12:15], a[206:207], a[134:135], v[12:15]// 000000004DC8: D3F3000C 1C330DCE
	buffer_load_dword v41, v31, s[28:31], 0 offen              // 000000004DD0: E0501000 8007291F
	v_fma_f32 v116, v8, v4, v116                               // 000000004DD8: D1CB0074 05D20908
	v_fma_f32 v117, v9, v4, v117                               // 000000004DE0: D1CB0075 05D60909
	v_fma_f32 v118, v10, v4, v118                              // 000000004DE8: D1CB0076 05DA090A
	v_fma_f32 v119, v11, v4, v119                              // 000000004DF0: D1CB0077 05DE090B
	v_mul_f32_dpp v6, v25, v57 row_newbcast:0 row_mask:0xf bank_mask:0xf// 000000004DF8: 0A0C72FA FF015019
	v_mfma_f32_16x16x32_fp8_fp8 v[8:11], a[192:193], a[136:137], 0// 000000004E00: D3F30008 1A0311C0
	v_mfma_f32_16x16x32_fp8_fp8 v[8:11], a[194:195], a[138:139], v[8:11]// 000000004E08: D3F30008 1C2315C2
	buffer_load_dword v42, v32, s[28:31], 0 offen              // 000000004E10: E0501000 80072A20
	v_mfma_f32_16x16x32_fp8_fp8 v[8:11], a[196:197], a[140:141], v[8:11]// 000000004E18: D3F30008 1C2319C4
	v_mfma_f32_16x16x32_fp8_fp8 v[8:11], a[198:199], a[142:143], v[8:11]// 000000004E20: D3F30008 1C231DC6
	buffer_load_dword v43, v33, s[28:31], 0 offen              // 000000004E28: E0501000 80072B21
	v_fma_f32 v156, v12, v4, v156                              // 000000004E30: D1CB009C 0672090C
	v_fma_f32 v157, v13, v4, v157                              // 000000004E38: D1CB009D 0676090D
	v_fma_f32 v158, v14, v4, v158                              // 000000004E40: D1CB009E 067A090E
	v_fma_f32 v159, v15, v4, v159                              // 000000004E48: D1CB009F 067E090F
	v_mfma_f32_16x16x32_fp8_fp8 v[12:15], a[200:201], a[136:137], 0// 000000004E50: D3F3000C 1A0311C8
	v_mfma_f32_16x16x32_fp8_fp8 v[12:15], a[202:203], a[138:139], v[12:15]// 000000004E58: D3F3000C 1C3315CA
	buffer_load_dword v44, v34, s[28:31], 0 offen              // 000000004E60: E0501000 80072C22
	v_mfma_f32_16x16x32_fp8_fp8 v[12:15], a[204:205], a[140:141], v[12:15]// 000000004E68: D3F3000C 1C3319CC
	v_mfma_f32_16x16x32_fp8_fp8 v[12:15], a[206:207], a[142:143], v[12:15]// 000000004E70: D3F3000C 1C331DCE
	buffer_load_dword v45, v35, s[28:31], 0 offen              // 000000004E78: E0501000 80072D23
	v_fma_f32 v120, v8, v6, v120                               // 000000004E80: D1CB0078 05E20D08
	v_fma_f32 v121, v9, v6, v121                               // 000000004E88: D1CB0079 05E60D09
	v_fma_f32 v122, v10, v6, v122                              // 000000004E90: D1CB007A 05EA0D0A
	v_fma_f32 v123, v11, v6, v123                              // 000000004E98: D1CB007B 05EE0D0B
	v_mul_f32_dpp v4, v25, v58 row_newbcast:0 row_mask:0xf bank_mask:0xf// 000000004EA0: 0A0874FA FF015019
	v_mfma_f32_16x16x32_fp8_fp8 v[8:11], a[192:193], a[144:145], 0// 000000004EA8: D3F30008 1A0321C0
	v_mfma_f32_16x16x32_fp8_fp8 v[8:11], a[194:195], a[146:147], v[8:11]// 000000004EB0: D3F30008 1C2325C2
	buffer_load_dword v46, v36, s[28:31], 0 offen              // 000000004EB8: E0501000 80072E24
	v_mfma_f32_16x16x32_fp8_fp8 v[8:11], a[196:197], a[148:149], v[8:11]// 000000004EC0: D3F30008 1C2329C4
	v_mfma_f32_16x16x32_fp8_fp8 v[8:11], a[198:199], a[150:151], v[8:11]// 000000004EC8: D3F30008 1C232DC6
	buffer_load_dword v47, v37, s[28:31], 0 offen              // 000000004ED0: E0501000 80072F25
	v_fma_f32 v160, v12, v6, v160                              // 000000004ED8: D1CB00A0 06820D0C
	v_fma_f32 v161, v13, v6, v161                              // 000000004EE0: D1CB00A1 06860D0D
	v_fma_f32 v162, v14, v6, v162                              // 000000004EE8: D1CB00A2 068A0D0E
	v_fma_f32 v163, v15, v6, v163                              // 000000004EF0: D1CB00A3 068E0D0F
	v_mfma_f32_16x16x32_fp8_fp8 v[12:15], a[200:201], a[144:145], 0// 000000004EF8: D3F3000C 1A0321C8
	v_mfma_f32_16x16x32_fp8_fp8 v[12:15], a[202:203], a[146:147], v[12:15]// 000000004F00: D3F3000C 1C3325CA
	buffer_load_dword v48, v38, s[28:31], 0 offen              // 000000004F08: E0501000 80073026
	v_mfma_f32_16x16x32_fp8_fp8 v[12:15], a[204:205], a[148:149], v[12:15]// 000000004F10: D3F3000C 1C3329CC
	v_mfma_f32_16x16x32_fp8_fp8 v[12:15], a[206:207], a[150:151], v[12:15]// 000000004F18: D3F3000C 1C332DCE
	buffer_load_dword v49, v39, s[28:31], 0 offen              // 000000004F20: E0501000 80073127
	v_fma_f32 v124, v8, v4, v124                               // 000000004F28: D1CB007C 05F20908
	v_fma_f32 v125, v9, v4, v125                               // 000000004F30: D1CB007D 05F60909
	v_fma_f32 v126, v10, v4, v126                              // 000000004F38: D1CB007E 05FA090A
	v_fma_f32 v127, v11, v4, v127                              // 000000004F40: D1CB007F 05FE090B
	v_mul_f32_dpp v6, v25, v59 row_newbcast:0 row_mask:0xf bank_mask:0xf// 000000004F48: 0A0C76FA FF015019
	v_mfma_f32_16x16x32_fp8_fp8 v[8:11], a[192:193], a[152:153], 0// 000000004F50: D3F30008 1A0331C0
	v_mfma_f32_16x16x32_fp8_fp8 v[8:11], a[194:195], a[154:155], v[8:11]// 000000004F58: D3F30008 1C2335C2
	v_mfma_f32_16x16x32_fp8_fp8 v[8:11], a[196:197], a[156:157], v[8:11]// 000000004F60: D3F30008 1C2339C4
	v_mfma_f32_16x16x32_fp8_fp8 v[8:11], a[198:199], a[158:159], v[8:11]// 000000004F68: D3F30008 1C233DC6
	v_fma_f32 v164, v12, v4, v164                              // 000000004F70: D1CB00A4 0692090C
	v_fma_f32 v165, v13, v4, v165                              // 000000004F78: D1CB00A5 0696090D
	v_fma_f32 v166, v14, v4, v166                              // 000000004F80: D1CB00A6 069A090E
	v_fma_f32 v167, v15, v4, v167                              // 000000004F88: D1CB00A7 069E090F
	v_mfma_f32_16x16x32_fp8_fp8 v[12:15], a[200:201], a[152:153], 0// 000000004F90: D3F3000C 1A0331C8
	v_mfma_f32_16x16x32_fp8_fp8 v[12:15], a[202:203], a[154:155], v[12:15]// 000000004F98: D3F3000C 1C3335CA
	v_mfma_f32_16x16x32_fp8_fp8 v[12:15], a[204:205], a[156:157], v[12:15]// 000000004FA0: D3F3000C 1C3339CC
	v_mfma_f32_16x16x32_fp8_fp8 v[12:15], a[206:207], a[158:159], v[12:15]// 000000004FA8: D3F3000C 1C333DCE
	v_fma_f32 v128, v8, v6, v128                               // 000000004FB0: D1CB0080 06020D08
	v_fma_f32 v129, v9, v6, v129                               // 000000004FB8: D1CB0081 06060D09
	v_fma_f32 v130, v10, v6, v130                              // 000000004FC0: D1CB0082 060A0D0A
	v_fma_f32 v131, v11, v6, v131                              // 000000004FC8: D1CB0083 060E0D0B
	v_fma_f32 v168, v12, v6, v168                              // 000000004FD0: D1CB00A8 06A20D0C
	v_fma_f32 v169, v13, v6, v169                              // 000000004FD8: D1CB00A9 06A60D0D
	v_fma_f32 v170, v14, v6, v170                              // 000000004FE0: D1CB00AA 06AA0D0E
	v_fma_f32 v171, v15, v6, v171                              // 000000004FE8: D1CB00AB 06AE0D0F
	s_waitcnt vmcnt(35)                                        // 000000004FF0: BF8C8F73
	s_barrier                                                  // 000000004FF4: BF8A0000
	v_mul_f32_dpp v4, v28, v50 row_newbcast:0 row_mask:0xf bank_mask:0xf// 000000004FF8: 0A0864FA FF01501C
	v_mfma_f32_16x16x32_fp8_fp8 v[8:11], a[160:161], a[80:81], 0// 000000005000: D3F30008 1A02A1A0
	buffer_load_dword v29, v23, s[32:35], 0 offen              // 000000005008: E0501000 80081D17
	v_mfma_f32_16x16x32_fp8_fp8 v[8:11], a[162:163], a[82:83], v[8:11]// 000000005010: D3F30008 1C22A5A2
	buffer_load_dwordx4 a[192:195], v90, s[84:87], 0 offen     // 000000005018: E05C1000 8095C05A
	v_mfma_f32_16x16x32_fp8_fp8 v[8:11], a[164:165], a[84:85], v[8:11]// 000000005020: D3F30008 1C22A9A4
	v_mfma_f32_16x16x32_fp8_fp8 v[8:11], a[166:167], a[86:87], v[8:11]// 000000005028: D3F30008 1C22ADA6
	ds_read_b128 a[0:3], v2 offset:41216                       // 000000005030: DBFEA100 00000002
	ds_read_b128 a[4:7], v2 offset:41280                       // 000000005038: DBFEA140 04000002
	v_mfma_f32_16x16x32_fp8_fp8 v[12:15], a[168:169], a[80:81], 0// 000000005040: D3F3000C 1A02A1A8
	v_mfma_f32_16x16x32_fp8_fp8 v[12:15], a[170:171], a[82:83], v[12:15]// 000000005048: D3F3000C 1C32A5AA
	buffer_load_dwordx4 a[196:199], v90, s[84:87], 0 offen offset:1024// 000000005050: E05C1400 8095C45A
	v_mfma_f32_16x16x32_fp8_fp8 v[12:15], a[172:173], a[84:85], v[12:15]// 000000005058: D3F3000C 1C32A9AC
	v_mfma_f32_16x16x32_fp8_fp8 v[12:15], a[174:175], a[86:87], v[12:15]// 000000005060: D3F3000C 1C32ADAE
	ds_read_b128 a[8:11], v2 offset:41728                      // 000000005068: DBFEA300 08000002
	ds_read_b128 a[12:15], v2 offset:41792                     // 000000005070: DBFEA340 0C000002
	v_fma_f32 v172, v8, v4, v172                               // 000000005078: D1CB00AC 06B20908
	v_fma_f32 v173, v9, v4, v173                               // 000000005080: D1CB00AD 06B60909
	v_fma_f32 v174, v10, v4, v174                              // 000000005088: D1CB00AE 06BA090A
	v_fma_f32 v175, v11, v4, v175                              // 000000005090: D1CB00AF 06BE090B
	v_mul_f32_dpp v6, v28, v51 row_newbcast:0 row_mask:0xf bank_mask:0xf// 000000005098: 0A0C66FA FF01501C
	v_mfma_f32_16x16x32_fp8_fp8 v[8:11], a[160:161], a[88:89], 0// 0000000050A0: D3F30008 1A02B1A0
	v_mfma_f32_16x16x32_fp8_fp8 v[8:11], a[162:163], a[90:91], v[8:11]// 0000000050A8: D3F30008 1C22B5A2
	buffer_load_dwordx4 a[200:203], v91, s[84:87], 0 offen     // 0000000050B0: E05C1000 8095C85B
	v_mfma_f32_16x16x32_fp8_fp8 v[8:11], a[164:165], a[92:93], v[8:11]// 0000000050B8: D3F30008 1C22B9A4
	v_mfma_f32_16x16x32_fp8_fp8 v[8:11], a[166:167], a[94:95], v[8:11]// 0000000050C0: D3F30008 1C22BDA6
	ds_read_b128 a[16:19], v2 offset:42240                     // 0000000050C8: DBFEA500 10000002
	ds_read_b128 a[20:23], v2 offset:42304                     // 0000000050D0: DBFEA540 14000002
	v_fma_f32 v212, v12, v4, v212                              // 0000000050D8: D1CB00D4 0752090C
	v_fma_f32 v213, v13, v4, v213                              // 0000000050E0: D1CB00D5 0756090D
	v_fma_f32 v214, v14, v4, v214                              // 0000000050E8: D1CB00D6 075A090E
	v_fma_f32 v215, v15, v4, v215                              // 0000000050F0: D1CB00D7 075E090F
	v_mfma_f32_16x16x32_fp8_fp8 v[12:15], a[168:169], a[88:89], 0// 0000000050F8: D3F3000C 1A02B1A8
	v_mfma_f32_16x16x32_fp8_fp8 v[12:15], a[170:171], a[90:91], v[12:15]// 000000005100: D3F3000C 1C32B5AA
	buffer_load_dwordx4 a[204:207], v91, s[84:87], 0 offen offset:1024// 000000005108: E05C1400 8095CC5B
	v_mfma_f32_16x16x32_fp8_fp8 v[12:15], a[172:173], a[92:93], v[12:15]// 000000005110: D3F3000C 1C32B9AC
	v_mfma_f32_16x16x32_fp8_fp8 v[12:15], a[174:175], a[94:95], v[12:15]// 000000005118: D3F3000C 1C32BDAE
	ds_read_b128 a[24:27], v2 offset:42752                     // 000000005120: DBFEA700 18000002
	ds_read_b128 a[28:31], v2 offset:42816                     // 000000005128: DBFEA740 1C000002
	v_fma_f32 v176, v8, v6, v176                               // 000000005130: D1CB00B0 06C20D08
	v_fma_f32 v177, v9, v6, v177                               // 000000005138: D1CB00B1 06C60D09
	v_fma_f32 v178, v10, v6, v178                              // 000000005140: D1CB00B2 06CA0D0A
	v_fma_f32 v179, v11, v6, v179                              // 000000005148: D1CB00B3 06CE0D0B
	v_mul_f32_dpp v4, v28, v52 row_newbcast:0 row_mask:0xf bank_mask:0xf// 000000005150: 0A0868FA FF01501C
	v_mfma_f32_16x16x32_fp8_fp8 v[8:11], a[160:161], a[96:97], 0// 000000005158: D3F30008 1A02C1A0
	v_mfma_f32_16x16x32_fp8_fp8 v[8:11], a[162:163], a[98:99], v[8:11]// 000000005160: D3F30008 1C22C5A2
	v_mfma_f32_16x16x32_fp8_fp8 v[8:11], a[164:165], a[100:101], v[8:11]// 000000005168: D3F30008 1C22C9A4
	v_mfma_f32_16x16x32_fp8_fp8 v[8:11], a[166:167], a[102:103], v[8:11]// 000000005170: D3F30008 1C22CDA6
	ds_read_b128 a[32:35], v2 offset:43264                     // 000000005178: DBFEA900 20000002
	ds_read_b128 a[36:39], v2 offset:43328                     // 000000005180: DBFEA940 24000002
	v_fma_f32 v216, v12, v6, v216                              // 000000005188: D1CB00D8 07620D0C
	v_fma_f32 v217, v13, v6, v217                              // 000000005190: D1CB00D9 07660D0D
	v_fma_f32 v218, v14, v6, v218                              // 000000005198: D1CB00DA 076A0D0E
	v_fma_f32 v219, v15, v6, v219                              // 0000000051A0: D1CB00DB 076E0D0F
	v_mfma_f32_16x16x32_fp8_fp8 v[12:15], a[168:169], a[96:97], 0// 0000000051A8: D3F3000C 1A02C1A8
	v_mfma_f32_16x16x32_fp8_fp8 v[12:15], a[170:171], a[98:99], v[12:15]// 0000000051B0: D3F3000C 1C32C5AA
	v_mfma_f32_16x16x32_fp8_fp8 v[12:15], a[172:173], a[100:101], v[12:15]// 0000000051B8: D3F3000C 1C32C9AC
	v_mfma_f32_16x16x32_fp8_fp8 v[12:15], a[174:175], a[102:103], v[12:15]// 0000000051C0: D3F3000C 1C32CDAE
	ds_read_b128 a[40:43], v2 offset:43776                     // 0000000051C8: DBFEAB00 28000002
	ds_read_b128 a[44:47], v2 offset:43840                     // 0000000051D0: DBFEAB40 2C000002
	v_fma_f32 v180, v8, v4, v180                               // 0000000051D8: D1CB00B4 06D20908
	v_fma_f32 v181, v9, v4, v181                               // 0000000051E0: D1CB00B5 06D60909
	v_fma_f32 v182, v10, v4, v182                              // 0000000051E8: D1CB00B6 06DA090A
	v_fma_f32 v183, v11, v4, v183                              // 0000000051F0: D1CB00B7 06DE090B
	v_mul_f32_dpp v6, v28, v53 row_newbcast:0 row_mask:0xf bank_mask:0xf// 0000000051F8: 0A0C6AFA FF01501C
	v_mfma_f32_16x16x32_fp8_fp8 v[8:11], a[160:161], a[104:105], 0// 000000005200: D3F30008 1A02D1A0
	v_mfma_f32_16x16x32_fp8_fp8 v[8:11], a[162:163], a[106:107], v[8:11]// 000000005208: D3F30008 1C22D5A2
	v_mfma_f32_16x16x32_fp8_fp8 v[8:11], a[164:165], a[108:109], v[8:11]// 000000005210: D3F30008 1C22D9A4
	v_mfma_f32_16x16x32_fp8_fp8 v[8:11], a[166:167], a[110:111], v[8:11]// 000000005218: D3F30008 1C22DDA6
	ds_read_b128 a[48:51], v2 offset:44288                     // 000000005220: DBFEAD00 30000002
	ds_read_b128 a[52:55], v2 offset:44352                     // 000000005228: DBFEAD40 34000002
	v_fma_f32 v220, v12, v4, v220                              // 000000005230: D1CB00DC 0772090C
	v_fma_f32 v221, v13, v4, v221                              // 000000005238: D1CB00DD 0776090D
	v_fma_f32 v222, v14, v4, v222                              // 000000005240: D1CB00DE 077A090E
	v_fma_f32 v223, v15, v4, v223                              // 000000005248: D1CB00DF 077E090F
	v_mfma_f32_16x16x32_fp8_fp8 v[12:15], a[168:169], a[104:105], 0// 000000005250: D3F3000C 1A02D1A8
	v_mfma_f32_16x16x32_fp8_fp8 v[12:15], a[170:171], a[106:107], v[12:15]// 000000005258: D3F3000C 1C32D5AA
	v_mfma_f32_16x16x32_fp8_fp8 v[12:15], a[172:173], a[108:109], v[12:15]// 000000005260: D3F3000C 1C32D9AC
	v_mfma_f32_16x16x32_fp8_fp8 v[12:15], a[174:175], a[110:111], v[12:15]// 000000005268: D3F3000C 1C32DDAE
	ds_read_b128 a[56:59], v2 offset:44800                     // 000000005270: DBFEAF00 38000002
	ds_read_b128 a[60:63], v2 offset:44864                     // 000000005278: DBFEAF40 3C000002
	v_fma_f32 v184, v8, v6, v184                               // 000000005280: D1CB00B8 06E20D08
	v_fma_f32 v185, v9, v6, v185                               // 000000005288: D1CB00B9 06E60D09
	v_fma_f32 v186, v10, v6, v186                              // 000000005290: D1CB00BA 06EA0D0A
	v_fma_f32 v187, v11, v6, v187                              // 000000005298: D1CB00BB 06EE0D0B
	v_mul_f32_dpp v4, v28, v54 row_newbcast:0 row_mask:0xf bank_mask:0xf// 0000000052A0: 0A086CFA FF01501C
	v_mfma_f32_16x16x32_fp8_fp8 v[8:11], a[160:161], a[112:113], 0// 0000000052A8: D3F30008 1A02E1A0
	v_mfma_f32_16x16x32_fp8_fp8 v[8:11], a[162:163], a[114:115], v[8:11]// 0000000052B0: D3F30008 1C22E5A2
	v_mfma_f32_16x16x32_fp8_fp8 v[8:11], a[164:165], a[116:117], v[8:11]// 0000000052B8: D3F30008 1C22E9A4
	v_mfma_f32_16x16x32_fp8_fp8 v[8:11], a[166:167], a[118:119], v[8:11]// 0000000052C0: D3F30008 1C22EDA6
	ds_read_b128 a[64:67], v2 offset:45312                     // 0000000052C8: DBFEB100 40000002
	ds_read_b128 a[68:71], v2 offset:45376                     // 0000000052D0: DBFEB140 44000002
	v_fma_f32 v224, v12, v6, v224                              // 0000000052D8: D1CB00E0 07820D0C
	v_fma_f32 v225, v13, v6, v225                              // 0000000052E0: D1CB00E1 07860D0D
	v_fma_f32 v226, v14, v6, v226                              // 0000000052E8: D1CB00E2 078A0D0E
	v_fma_f32 v227, v15, v6, v227                              // 0000000052F0: D1CB00E3 078E0D0F
	v_mfma_f32_16x16x32_fp8_fp8 v[12:15], a[168:169], a[112:113], 0// 0000000052F8: D3F3000C 1A02E1A8
	v_mfma_f32_16x16x32_fp8_fp8 v[12:15], a[170:171], a[114:115], v[12:15]// 000000005300: D3F3000C 1C32E5AA
	v_mfma_f32_16x16x32_fp8_fp8 v[12:15], a[172:173], a[116:117], v[12:15]// 000000005308: D3F3000C 1C32E9AC
	v_mfma_f32_16x16x32_fp8_fp8 v[12:15], a[174:175], a[118:119], v[12:15]// 000000005310: D3F3000C 1C32EDAE
	ds_read_b128 a[72:75], v2 offset:45824                     // 000000005318: DBFEB300 48000002
	ds_read_b128 a[76:79], v2 offset:45888                     // 000000005320: DBFEB340 4C000002
	v_fma_f32 v188, v8, v4, v188                               // 000000005328: D1CB00BC 06F20908
	v_fma_f32 v189, v9, v4, v189                               // 000000005330: D1CB00BD 06F60909
	v_fma_f32 v190, v10, v4, v190                              // 000000005338: D1CB00BE 06FA090A
	v_fma_f32 v191, v11, v4, v191                              // 000000005340: D1CB00BF 06FE090B
	v_mul_f32_dpp v6, v28, v55 row_newbcast:0 row_mask:0xf bank_mask:0xf// 000000005348: 0A0C6EFA FF01501C
	v_mfma_f32_16x16x32_fp8_fp8 v[8:11], a[160:161], a[120:121], 0// 000000005350: D3F30008 1A02F1A0
	v_mfma_f32_16x16x32_fp8_fp8 v[8:11], a[162:163], a[122:123], v[8:11]// 000000005358: D3F30008 1C22F5A2
	v_mfma_f32_16x16x32_fp8_fp8 v[8:11], a[164:165], a[124:125], v[8:11]// 000000005360: D3F30008 1C22F9A4
	v_mfma_f32_16x16x32_fp8_fp8 v[8:11], a[166:167], a[126:127], v[8:11]// 000000005368: D3F30008 1C22FDA6
	v_fma_f32 v228, v12, v4, v228                              // 000000005370: D1CB00E4 0792090C
	v_fma_f32 v229, v13, v4, v229                              // 000000005378: D1CB00E5 0796090D
	v_fma_f32 v230, v14, v4, v230                              // 000000005380: D1CB00E6 079A090E
	v_fma_f32 v231, v15, v4, v231                              // 000000005388: D1CB00E7 079E090F
	v_mfma_f32_16x16x32_fp8_fp8 v[12:15], a[168:169], a[120:121], 0// 000000005390: D3F3000C 1A02F1A8
	v_mfma_f32_16x16x32_fp8_fp8 v[12:15], a[170:171], a[122:123], v[12:15]// 000000005398: D3F3000C 1C32F5AA
	v_mfma_f32_16x16x32_fp8_fp8 v[12:15], a[172:173], a[124:125], v[12:15]// 0000000053A0: D3F3000C 1C32F9AC
	v_mfma_f32_16x16x32_fp8_fp8 v[12:15], a[174:175], a[126:127], v[12:15]// 0000000053A8: D3F3000C 1C32FDAE
	v_fma_f32 v192, v8, v6, v192                               // 0000000053B0: D1CB00C0 07020D08
	v_fma_f32 v193, v9, v6, v193                               // 0000000053B8: D1CB00C1 07060D09
	v_fma_f32 v194, v10, v6, v194                              // 0000000053C0: D1CB00C2 070A0D0A
	v_fma_f32 v195, v11, v6, v195                              // 0000000053C8: D1CB00C3 070E0D0B
	v_mul_f32_dpp v4, v28, v56 row_newbcast:0 row_mask:0xf bank_mask:0xf// 0000000053D0: 0A0870FA FF01501C
	v_mfma_f32_16x16x32_fp8_fp8 v[8:11], a[160:161], a[128:129], 0// 0000000053D8: D3F30008 1A0301A0
	v_mfma_f32_16x16x32_fp8_fp8 v[8:11], a[162:163], a[130:131], v[8:11]// 0000000053E0: D3F30008 1C2305A2
	v_mfma_f32_16x16x32_fp8_fp8 v[8:11], a[164:165], a[132:133], v[8:11]// 0000000053E8: D3F30008 1C2309A4
	v_mfma_f32_16x16x32_fp8_fp8 v[8:11], a[166:167], a[134:135], v[8:11]// 0000000053F0: D3F30008 1C230DA6
	v_fma_f32 v232, v12, v6, v232                              // 0000000053F8: D1CB00E8 07A20D0C
	v_fma_f32 v233, v13, v6, v233                              // 000000005400: D1CB00E9 07A60D0D
	v_fma_f32 v234, v14, v6, v234                              // 000000005408: D1CB00EA 07AA0D0E
	v_fma_f32 v235, v15, v6, v235                              // 000000005410: D1CB00EB 07AE0D0F
	v_mfma_f32_16x16x32_fp8_fp8 v[12:15], a[168:169], a[128:129], 0// 000000005418: D3F3000C 1A0301A8
	v_mfma_f32_16x16x32_fp8_fp8 v[12:15], a[170:171], a[130:131], v[12:15]// 000000005420: D3F3000C 1C3305AA
	v_mfma_f32_16x16x32_fp8_fp8 v[12:15], a[172:173], a[132:133], v[12:15]// 000000005428: D3F3000C 1C3309AC
	v_mfma_f32_16x16x32_fp8_fp8 v[12:15], a[174:175], a[134:135], v[12:15]// 000000005430: D3F3000C 1C330DAE
	v_fma_f32 v196, v8, v4, v196                               // 000000005438: D1CB00C4 07120908
	v_fma_f32 v197, v9, v4, v197                               // 000000005440: D1CB00C5 07160909
	v_fma_f32 v198, v10, v4, v198                              // 000000005448: D1CB00C6 071A090A
	v_fma_f32 v199, v11, v4, v199                              // 000000005450: D1CB00C7 071E090B
	v_mul_f32_dpp v6, v28, v57 row_newbcast:0 row_mask:0xf bank_mask:0xf// 000000005458: 0A0C72FA FF01501C
	v_mfma_f32_16x16x32_fp8_fp8 v[8:11], a[160:161], a[136:137], 0// 000000005460: D3F30008 1A0311A0
	v_mfma_f32_16x16x32_fp8_fp8 v[8:11], a[162:163], a[138:139], v[8:11]// 000000005468: D3F30008 1C2315A2
	v_mfma_f32_16x16x32_fp8_fp8 v[8:11], a[164:165], a[140:141], v[8:11]// 000000005470: D3F30008 1C2319A4
	v_mfma_f32_16x16x32_fp8_fp8 v[8:11], a[166:167], a[142:143], v[8:11]// 000000005478: D3F30008 1C231DA6
	v_fma_f32 v236, v12, v4, v236                              // 000000005480: D1CB00EC 07B2090C
	v_fma_f32 v237, v13, v4, v237                              // 000000005488: D1CB00ED 07B6090D
	v_fma_f32 v238, v14, v4, v238                              // 000000005490: D1CB00EE 07BA090E
	v_fma_f32 v239, v15, v4, v239                              // 000000005498: D1CB00EF 07BE090F
	v_mfma_f32_16x16x32_fp8_fp8 v[12:15], a[168:169], a[136:137], 0// 0000000054A0: D3F3000C 1A0311A8
	v_mfma_f32_16x16x32_fp8_fp8 v[12:15], a[170:171], a[138:139], v[12:15]// 0000000054A8: D3F3000C 1C3315AA
	v_mfma_f32_16x16x32_fp8_fp8 v[12:15], a[172:173], a[140:141], v[12:15]// 0000000054B0: D3F3000C 1C3319AC
	v_mfma_f32_16x16x32_fp8_fp8 v[12:15], a[174:175], a[142:143], v[12:15]// 0000000054B8: D3F3000C 1C331DAE
	v_fma_f32 v200, v8, v6, v200                               // 0000000054C0: D1CB00C8 07220D08
	v_fma_f32 v201, v9, v6, v201                               // 0000000054C8: D1CB00C9 07260D09
	v_fma_f32 v202, v10, v6, v202                              // 0000000054D0: D1CB00CA 072A0D0A
	v_fma_f32 v203, v11, v6, v203                              // 0000000054D8: D1CB00CB 072E0D0B
	v_mul_f32_dpp v4, v28, v58 row_newbcast:0 row_mask:0xf bank_mask:0xf// 0000000054E0: 0A0874FA FF01501C
	v_mfma_f32_16x16x32_fp8_fp8 v[8:11], a[160:161], a[144:145], 0// 0000000054E8: D3F30008 1A0321A0
	v_mfma_f32_16x16x32_fp8_fp8 v[8:11], a[162:163], a[146:147], v[8:11]// 0000000054F0: D3F30008 1C2325A2
	v_mfma_f32_16x16x32_fp8_fp8 v[8:11], a[164:165], a[148:149], v[8:11]// 0000000054F8: D3F30008 1C2329A4
	v_mfma_f32_16x16x32_fp8_fp8 v[8:11], a[166:167], a[150:151], v[8:11]// 000000005500: D3F30008 1C232DA6
	v_fma_f32 v240, v12, v6, v240                              // 000000005508: D1CB00F0 07C20D0C
	v_fma_f32 v241, v13, v6, v241                              // 000000005510: D1CB00F1 07C60D0D
	v_fma_f32 v242, v14, v6, v242                              // 000000005518: D1CB00F2 07CA0D0E
	v_fma_f32 v243, v15, v6, v243                              // 000000005520: D1CB00F3 07CE0D0F
	v_mfma_f32_16x16x32_fp8_fp8 v[12:15], a[168:169], a[144:145], 0// 000000005528: D3F3000C 1A0321A8
	v_mfma_f32_16x16x32_fp8_fp8 v[12:15], a[170:171], a[146:147], v[12:15]// 000000005530: D3F3000C 1C3325AA
	v_mfma_f32_16x16x32_fp8_fp8 v[12:15], a[172:173], a[148:149], v[12:15]// 000000005538: D3F3000C 1C3329AC
	v_mfma_f32_16x16x32_fp8_fp8 v[12:15], a[174:175], a[150:151], v[12:15]// 000000005540: D3F3000C 1C332DAE
	v_fma_f32 v204, v8, v4, v204                               // 000000005548: D1CB00CC 07320908
	v_fma_f32 v205, v9, v4, v205                               // 000000005550: D1CB00CD 07360909
	v_fma_f32 v206, v10, v4, v206                              // 000000005558: D1CB00CE 073A090A
	v_fma_f32 v207, v11, v4, v207                              // 000000005560: D1CB00CF 073E090B
	v_mul_f32_dpp v6, v28, v59 row_newbcast:0 row_mask:0xf bank_mask:0xf// 000000005568: 0A0C76FA FF01501C
	v_mfma_f32_16x16x32_fp8_fp8 v[8:11], a[160:161], a[152:153], 0// 000000005570: D3F30008 1A0331A0
	s_add_u32 s60, 0x180, s80                                  // 000000005578: 803C50FF 00000180
	s_cmp_lt_u32 s60, s81                                      // 000000005580: BF0A513C
	s_cselect_b32 s57, s57, 0                                  // 000000005584: 85398039
	s_cselect_b32 s3, s3, 0                                    // 000000005588: 85038003
	v_mfma_f32_16x16x32_fp8_fp8 v[8:11], a[162:163], a[154:155], v[8:11]// 00000000558C: D3F30008 1C2335A2
	s_add_u32 s60, 0x100, s80                                  // 000000005594: 803C50FF 00000100
	s_cmp_lt_u32 s60, s81                                      // 00000000559C: BF0A513C
	s_cselect_b32 s58, s58, 0                                  // 0000000055A0: 853A803A
	v_mfma_f32_16x16x32_fp8_fp8 v[8:11], a[164:165], a[156:157], v[8:11]// 0000000055A4: D3F30008 1C2339A4
	s_add_u32 s60, 0x100, s80                                  // 0000000055AC: 803C50FF 00000100
	s_cmp_lt_u32 s60, s81                                      // 0000000055B4: BF0A513C
	s_cselect_b32 s83, s83, 0                                  // 0000000055B8: 85538053
	s_cselect_b32 s4, s4, 0                                    // 0000000055BC: 85048004
	v_mfma_f32_16x16x32_fp8_fp8 v[8:11], a[166:167], a[158:159], v[8:11]// 0000000055C0: D3F30008 1C233DA6
	s_add_u32 s24, s58, s24                                    // 0000000055C8: 8018183A
	s_addc_u32 s25, 0, s25                                     // 0000000055CC: 82191980
	v_fma_f32 v244, v12, v4, v244                              // 0000000055D0: D1CB00F4 07D2090C
	v_fma_f32 v245, v13, v4, v245                              // 0000000055D8: D1CB00F5 07D6090D
	v_fma_f32 v246, v14, v4, v246                              // 0000000055E0: D1CB00F6 07DA090E
	v_fma_f32 v247, v15, v4, v247                              // 0000000055E8: D1CB00F7 07DE090F
	v_mfma_f32_16x16x32_fp8_fp8 v[12:15], a[168:169], a[152:153], 0// 0000000055F0: D3F3000C 1A0331A8
	s_add_u32 s20, s57, s20                                    // 0000000055F8: 80141439
	s_addc_u32 s21, 0, s21                                     // 0000000055FC: 82151580
	s_add_u32 s28, s3, s28                                     // 000000005600: 801C1C03
	s_addc_u32 s29, 0, s29                                     // 000000005604: 821D1D80
	v_mfma_f32_16x16x32_fp8_fp8 v[12:15], a[170:171], a[154:155], v[12:15]// 000000005608: D3F3000C 1C3335AA
	s_add_u32 s84, s83, s84                                    // 000000005610: 80545453
	s_addc_u32 s85, 0, s85                                     // 000000005614: 82555580
	v_mfma_f32_16x16x32_fp8_fp8 v[12:15], a[172:173], a[156:157], v[12:15]// 000000005618: D3F3000C 1C3339AC
	s_add_u32 s32, s4, s32                                     // 000000005620: 80202004
	s_addc_u32 s33, 0, s33                                     // 000000005624: 82212180
	v_mfma_f32_16x16x32_fp8_fp8 v[12:15], a[174:175], a[158:159], v[12:15]// 000000005628: D3F3000C 1C333DAE
	v_fma_f32 v208, v8, v6, v208                               // 000000005630: D1CB00D0 07420D08
	v_fma_f32 v209, v9, v6, v209                               // 000000005638: D1CB00D1 07460D09
	v_fma_f32 v210, v10, v6, v210                              // 000000005640: D1CB00D2 074A0D0A
	v_fma_f32 v211, v11, v6, v211                              // 000000005648: D1CB00D3 074E0D0B
	v_fma_f32 v248, v12, v6, v248                              // 000000005650: D1CB00F8 07E20D0C
	v_fma_f32 v249, v13, v6, v249                              // 000000005658: D1CB00F9 07E60D0D
	v_fma_f32 v250, v14, v6, v250                              // 000000005660: D1CB00FA 07EA0D0E
	v_fma_f32 v251, v15, v6, v251                              // 000000005668: D1CB00FB 07EE0D0F
	s_addk_i32 s80, 0x80                                       // 000000005670: B7500080
	s_cmp_lt_i32 s80, s81                                      // 000000005674: BF045150
	s_cbranch_scc0 label_18B4                                  // 000000005678: BF840D95
	s_waitcnt vmcnt(35) lgkmcnt(0)                             // 00000000567C: BF8C8073
	v_mul_f32_dpp v4, v26, v60 row_newbcast:0 row_mask:0xf bank_mask:0xf// 000000005680: 0A0878FA FF01501A
	v_mfma_f32_16x16x32_fp8_fp8 v[8:11], a[176:177], a[0:1], 0 // 000000005688: D3F30008 1A0201B0
	buffer_load_dword v24, v22, s[32:35], 0 offen              // 000000005690: E0501000 80081816
	v_mfma_f32_16x16x32_fp8_fp8 v[8:11], a[178:179], a[2:3], v[8:11]// 000000005698: D3F30008 1C2205B2
	buffer_load_dwordx4 a[160:163], v90, s[24:27], 0 offen     // 0000000056A0: E05C1000 8086A05A
	v_mfma_f32_16x16x32_fp8_fp8 v[8:11], a[180:181], a[4:5], v[8:11]// 0000000056A8: D3F30008 1C2209B4
	v_mfma_f32_16x16x32_fp8_fp8 v[8:11], a[182:183], a[6:7], v[8:11]// 0000000056B0: D3F30008 1C220DB6
	v_mfma_f32_16x16x32_fp8_fp8 v[12:15], a[184:185], a[0:1], 0// 0000000056B8: D3F3000C 1A0201B8
	v_mfma_f32_16x16x32_fp8_fp8 v[12:15], a[186:187], a[2:3], v[12:15]// 0000000056C0: D3F3000C 1C3205BA
	buffer_load_dwordx4 a[164:167], v90, s[24:27], 0 offen offset:1024// 0000000056C8: E05C1400 8086A45A
	v_mfma_f32_16x16x32_fp8_fp8 v[12:15], a[188:189], a[4:5], v[12:15]// 0000000056D0: D3F3000C 1C3209BC
	v_mfma_f32_16x16x32_fp8_fp8 v[12:15], a[190:191], a[6:7], v[12:15]// 0000000056D8: D3F3000C 1C320DBE
	v_fma_f32 v92, v8, v4, v92                                 // 0000000056E0: D1CB005C 05720908
	v_fma_f32 v93, v9, v4, v93                                 // 0000000056E8: D1CB005D 05760909
	v_fma_f32 v94, v10, v4, v94                                // 0000000056F0: D1CB005E 057A090A
	v_fma_f32 v95, v11, v4, v95                                // 0000000056F8: D1CB005F 057E090B
	v_mul_f32_dpp v6, v26, v61 row_newbcast:0 row_mask:0xf bank_mask:0xf// 000000005700: 0A0C7AFA FF01501A
	v_mfma_f32_16x16x32_fp8_fp8 v[8:11], a[176:177], a[8:9], 0 // 000000005708: D3F30008 1A0211B0
	v_mfma_f32_16x16x32_fp8_fp8 v[8:11], a[178:179], a[10:11], v[8:11]// 000000005710: D3F30008 1C2215B2
	buffer_load_dwordx4 a[168:171], v91, s[24:27], 0 offen     // 000000005718: E05C1000 8086A85B
	v_mfma_f32_16x16x32_fp8_fp8 v[8:11], a[180:181], a[12:13], v[8:11]// 000000005720: D3F30008 1C2219B4
	v_mfma_f32_16x16x32_fp8_fp8 v[8:11], a[182:183], a[14:15], v[8:11]// 000000005728: D3F30008 1C221DB6
	v_fma_f32 v132, v12, v4, v132                              // 000000005730: D1CB0084 0612090C
	v_fma_f32 v133, v13, v4, v133                              // 000000005738: D1CB0085 0616090D
	v_fma_f32 v134, v14, v4, v134                              // 000000005740: D1CB0086 061A090E
	v_fma_f32 v135, v15, v4, v135                              // 000000005748: D1CB0087 061E090F
	v_mfma_f32_16x16x32_fp8_fp8 v[12:15], a[184:185], a[8:9], 0// 000000005750: D3F3000C 1A0211B8
	v_mfma_f32_16x16x32_fp8_fp8 v[12:15], a[186:187], a[10:11], v[12:15]// 000000005758: D3F3000C 1C3215BA
	buffer_load_dwordx4 a[172:175], v91, s[24:27], 0 offen offset:1024// 000000005760: E05C1400 8086AC5B
	buffer_load_dword v70, s[20:23], 0 offen lds               // 000000005768: E0511000 80050046
	s_add_u32 m0, 0x100, s49                                   // 000000005770: 807C31FF 00000100
	v_mfma_f32_16x16x32_fp8_fp8 v[12:15], a[188:189], a[12:13], v[12:15]// 000000005778: D3F3000C 1C3219BC
	v_mfma_f32_16x16x32_fp8_fp8 v[12:15], a[190:191], a[14:15], v[12:15]// 000000005780: D3F3000C 1C321DBE
	buffer_load_dword v71, s[20:23], 0 offen lds               // 000000005788: E0511000 80050047
	s_add_u32 m0, 0x200, s49                                   // 000000005790: 807C31FF 00000200
	v_fma_f32 v96, v8, v6, v96                                 // 000000005798: D1CB0060 05820D08
	v_fma_f32 v97, v9, v6, v97                                 // 0000000057A0: D1CB0061 05860D09
	v_fma_f32 v98, v10, v6, v98                                // 0000000057A8: D1CB0062 058A0D0A
	v_fma_f32 v99, v11, v6, v99                                // 0000000057B0: D1CB0063 058E0D0B
	v_mul_f32_dpp v4, v26, v62 row_newbcast:0 row_mask:0xf bank_mask:0xf// 0000000057B8: 0A087CFA FF01501A
	v_mfma_f32_16x16x32_fp8_fp8 v[8:11], a[176:177], a[16:17], 0// 0000000057C0: D3F30008 1A0221B0
	v_mfma_f32_16x16x32_fp8_fp8 v[8:11], a[178:179], a[18:19], v[8:11]// 0000000057C8: D3F30008 1C2225B2
	buffer_load_dword v72, s[20:23], 0 offen lds               // 0000000057D0: E0511000 80050048
	s_add_u32 m0, 0x300, s49                                   // 0000000057D8: 807C31FF 00000300
	v_mfma_f32_16x16x32_fp8_fp8 v[8:11], a[180:181], a[20:21], v[8:11]// 0000000057E0: D3F30008 1C2229B4
	v_mfma_f32_16x16x32_fp8_fp8 v[8:11], a[182:183], a[22:23], v[8:11]// 0000000057E8: D3F30008 1C222DB6
	buffer_load_dword v73, s[20:23], 0 offen lds               // 0000000057F0: E0511000 80050049
	s_add_u32 m0, 0x400, s49                                   // 0000000057F8: 807C31FF 00000400
	v_fma_f32 v136, v12, v6, v136                              // 000000005800: D1CB0088 06220D0C
	v_fma_f32 v137, v13, v6, v137                              // 000000005808: D1CB0089 06260D0D
	v_fma_f32 v138, v14, v6, v138                              // 000000005810: D1CB008A 062A0D0E
	v_fma_f32 v139, v15, v6, v139                              // 000000005818: D1CB008B 062E0D0F
	v_mfma_f32_16x16x32_fp8_fp8 v[12:15], a[184:185], a[16:17], 0// 000000005820: D3F3000C 1A0221B8
	v_mfma_f32_16x16x32_fp8_fp8 v[12:15], a[186:187], a[18:19], v[12:15]// 000000005828: D3F3000C 1C3225BA
	buffer_load_dword v74, s[20:23], 0 offen lds               // 000000005830: E0511000 8005004A
	s_add_u32 m0, 0x500, s49                                   // 000000005838: 807C31FF 00000500
	v_mfma_f32_16x16x32_fp8_fp8 v[12:15], a[188:189], a[20:21], v[12:15]// 000000005840: D3F3000C 1C3229BC
	v_mfma_f32_16x16x32_fp8_fp8 v[12:15], a[190:191], a[22:23], v[12:15]// 000000005848: D3F3000C 1C322DBE
	buffer_load_dword v75, s[20:23], 0 offen lds               // 000000005850: E0511000 8005004B
	s_add_u32 m0, 0x600, s49                                   // 000000005858: 807C31FF 00000600
	v_fma_f32 v100, v8, v4, v100                               // 000000005860: D1CB0064 05920908
	v_fma_f32 v101, v9, v4, v101                               // 000000005868: D1CB0065 05960909
	v_fma_f32 v102, v10, v4, v102                              // 000000005870: D1CB0066 059A090A
	v_fma_f32 v103, v11, v4, v103                              // 000000005878: D1CB0067 059E090B
	v_mul_f32_dpp v6, v26, v63 row_newbcast:0 row_mask:0xf bank_mask:0xf// 000000005880: 0A0C7EFA FF01501A
	v_mfma_f32_16x16x32_fp8_fp8 v[8:11], a[176:177], a[24:25], 0// 000000005888: D3F30008 1A0231B0
	v_mfma_f32_16x16x32_fp8_fp8 v[8:11], a[178:179], a[26:27], v[8:11]// 000000005890: D3F30008 1C2235B2
	buffer_load_dword v76, s[20:23], 0 offen lds               // 000000005898: E0511000 8005004C
	s_add_u32 m0, 0x700, s49                                   // 0000000058A0: 807C31FF 00000700
	v_mfma_f32_16x16x32_fp8_fp8 v[8:11], a[180:181], a[28:29], v[8:11]// 0000000058A8: D3F30008 1C2239B4
	v_mfma_f32_16x16x32_fp8_fp8 v[8:11], a[182:183], a[30:31], v[8:11]// 0000000058B0: D3F30008 1C223DB6
	buffer_load_dword v77, s[20:23], 0 offen lds               // 0000000058B8: E0511000 8005004D
	s_add_u32 m0, 0x800, s49                                   // 0000000058C0: 807C31FF 00000800
	v_fma_f32 v140, v12, v4, v140                              // 0000000058C8: D1CB008C 0632090C
	v_fma_f32 v141, v13, v4, v141                              // 0000000058D0: D1CB008D 0636090D
	v_fma_f32 v142, v14, v4, v142                              // 0000000058D8: D1CB008E 063A090E
	v_fma_f32 v143, v15, v4, v143                              // 0000000058E0: D1CB008F 063E090F
	v_mfma_f32_16x16x32_fp8_fp8 v[12:15], a[184:185], a[24:25], 0// 0000000058E8: D3F3000C 1A0231B8
	v_mfma_f32_16x16x32_fp8_fp8 v[12:15], a[186:187], a[26:27], v[12:15]// 0000000058F0: D3F3000C 1C3235BA
	buffer_load_dword v78, s[20:23], 0 offen lds               // 0000000058F8: E0511000 8005004E
	s_add_u32 m0, 0x900, s49                                   // 000000005900: 807C31FF 00000900
	v_mfma_f32_16x16x32_fp8_fp8 v[12:15], a[188:189], a[28:29], v[12:15]// 000000005908: D3F3000C 1C3239BC
	v_mfma_f32_16x16x32_fp8_fp8 v[12:15], a[190:191], a[30:31], v[12:15]// 000000005910: D3F3000C 1C323DBE
	buffer_load_dword v79, s[20:23], 0 offen lds               // 000000005918: E0511000 8005004F
	s_add_u32 m0, 0xa00, s49                                   // 000000005920: 807C31FF 00000A00
	v_fma_f32 v104, v8, v6, v104                               // 000000005928: D1CB0068 05A20D08
	v_fma_f32 v105, v9, v6, v105                               // 000000005930: D1CB0069 05A60D09
	v_fma_f32 v106, v10, v6, v106                              // 000000005938: D1CB006A 05AA0D0A
	v_fma_f32 v107, v11, v6, v107                              // 000000005940: D1CB006B 05AE0D0B
	v_mul_f32_dpp v4, v26, v64 row_newbcast:0 row_mask:0xf bank_mask:0xf// 000000005948: 0A0880FA FF01501A
	v_mfma_f32_16x16x32_fp8_fp8 v[8:11], a[176:177], a[32:33], 0// 000000005950: D3F30008 1A0241B0
	v_mfma_f32_16x16x32_fp8_fp8 v[8:11], a[178:179], a[34:35], v[8:11]// 000000005958: D3F30008 1C2245B2
	buffer_load_dword v80, s[20:23], 0 offen lds               // 000000005960: E0511000 80050050
	s_add_u32 m0, 0xb00, s49                                   // 000000005968: 807C31FF 00000B00
	v_mfma_f32_16x16x32_fp8_fp8 v[8:11], a[180:181], a[36:37], v[8:11]// 000000005970: D3F30008 1C2249B4
	v_mfma_f32_16x16x32_fp8_fp8 v[8:11], a[182:183], a[38:39], v[8:11]// 000000005978: D3F30008 1C224DB6
	buffer_load_dword v81, s[20:23], 0 offen lds               // 000000005980: E0511000 80050051
	s_add_u32 m0, 0xc00, s49                                   // 000000005988: 807C31FF 00000C00
	v_fma_f32 v144, v12, v6, v144                              // 000000005990: D1CB0090 06420D0C
	v_fma_f32 v145, v13, v6, v145                              // 000000005998: D1CB0091 06460D0D
	v_fma_f32 v146, v14, v6, v146                              // 0000000059A0: D1CB0092 064A0D0E
	v_fma_f32 v147, v15, v6, v147                              // 0000000059A8: D1CB0093 064E0D0F
	v_mfma_f32_16x16x32_fp8_fp8 v[12:15], a[184:185], a[32:33], 0// 0000000059B0: D3F3000C 1A0241B8
	v_mfma_f32_16x16x32_fp8_fp8 v[12:15], a[186:187], a[34:35], v[12:15]// 0000000059B8: D3F3000C 1C3245BA
	buffer_load_dword v82, s[20:23], 0 offen lds               // 0000000059C0: E0511000 80050052
	s_add_u32 m0, 0xd00, s49                                   // 0000000059C8: 807C31FF 00000D00
	v_mfma_f32_16x16x32_fp8_fp8 v[12:15], a[188:189], a[36:37], v[12:15]// 0000000059D0: D3F3000C 1C3249BC
	v_mfma_f32_16x16x32_fp8_fp8 v[12:15], a[190:191], a[38:39], v[12:15]// 0000000059D8: D3F3000C 1C324DBE
	buffer_load_dword v83, s[20:23], 0 offen lds               // 0000000059E0: E0511000 80050053
	s_add_u32 m0, 0xe00, s49                                   // 0000000059E8: 807C31FF 00000E00
	v_fma_f32 v108, v8, v4, v108                               // 0000000059F0: D1CB006C 05B20908
	v_fma_f32 v109, v9, v4, v109                               // 0000000059F8: D1CB006D 05B60909
	v_fma_f32 v110, v10, v4, v110                              // 000000005A00: D1CB006E 05BA090A
	v_fma_f32 v111, v11, v4, v111                              // 000000005A08: D1CB006F 05BE090B
	v_mul_f32_dpp v6, v26, v65 row_newbcast:0 row_mask:0xf bank_mask:0xf// 000000005A10: 0A0C82FA FF01501A
	v_mfma_f32_16x16x32_fp8_fp8 v[8:11], a[176:177], a[40:41], 0// 000000005A18: D3F30008 1A0251B0
	v_mfma_f32_16x16x32_fp8_fp8 v[8:11], a[178:179], a[42:43], v[8:11]// 000000005A20: D3F30008 1C2255B2
	buffer_load_dword v84, s[20:23], 0 offen lds               // 000000005A28: E0511000 80050054
	s_add_u32 m0, 0xf00, s49                                   // 000000005A30: 807C31FF 00000F00
	v_mfma_f32_16x16x32_fp8_fp8 v[8:11], a[180:181], a[44:45], v[8:11]// 000000005A38: D3F30008 1C2259B4
	v_mfma_f32_16x16x32_fp8_fp8 v[8:11], a[182:183], a[46:47], v[8:11]// 000000005A40: D3F30008 1C225DB6
	buffer_load_dword v85, s[20:23], 0 offen lds               // 000000005A48: E0511000 80050055
	s_add_u32 m0, 0x1000, s49                                  // 000000005A50: 807C31FF 00001000
	v_fma_f32 v148, v12, v4, v148                              // 000000005A58: D1CB0094 0652090C
	v_fma_f32 v149, v13, v4, v149                              // 000000005A60: D1CB0095 0656090D
	v_fma_f32 v150, v14, v4, v150                              // 000000005A68: D1CB0096 065A090E
	v_fma_f32 v151, v15, v4, v151                              // 000000005A70: D1CB0097 065E090F
	v_mfma_f32_16x16x32_fp8_fp8 v[12:15], a[184:185], a[40:41], 0// 000000005A78: D3F3000C 1A0251B8
	v_mfma_f32_16x16x32_fp8_fp8 v[12:15], a[186:187], a[42:43], v[12:15]// 000000005A80: D3F3000C 1C3255BA
	buffer_load_dword v86, s[20:23], 0 offen lds               // 000000005A88: E0511000 80050056
	s_add_u32 m0, 0x1100, s49                                  // 000000005A90: 807C31FF 00001100
	v_mfma_f32_16x16x32_fp8_fp8 v[12:15], a[188:189], a[44:45], v[12:15]// 000000005A98: D3F3000C 1C3259BC
	v_mfma_f32_16x16x32_fp8_fp8 v[12:15], a[190:191], a[46:47], v[12:15]// 000000005AA0: D3F3000C 1C325DBE
	buffer_load_dword v87, s[20:23], 0 offen lds               // 000000005AA8: E0511000 80050057
	s_add_u32 m0, 0x1200, s49                                  // 000000005AB0: 807C31FF 00001200
	v_fma_f32 v112, v8, v6, v112                               // 000000005AB8: D1CB0070 05C20D08
	v_fma_f32 v113, v9, v6, v113                               // 000000005AC0: D1CB0071 05C60D09
	v_fma_f32 v114, v10, v6, v114                              // 000000005AC8: D1CB0072 05CA0D0A
	v_fma_f32 v115, v11, v6, v115                              // 000000005AD0: D1CB0073 05CE0D0B
	v_mul_f32_dpp v4, v26, v66 row_newbcast:0 row_mask:0xf bank_mask:0xf// 000000005AD8: 0A0884FA FF01501A
	v_mfma_f32_16x16x32_fp8_fp8 v[8:11], a[176:177], a[48:49], 0// 000000005AE0: D3F30008 1A0261B0
	v_mfma_f32_16x16x32_fp8_fp8 v[8:11], a[178:179], a[50:51], v[8:11]// 000000005AE8: D3F30008 1C2265B2
	buffer_load_dword v88, s[20:23], 0 offen lds               // 000000005AF0: E0511000 80050058
	s_add_u32 m0, 0x1300, s49                                  // 000000005AF8: 807C31FF 00001300
	v_mfma_f32_16x16x32_fp8_fp8 v[8:11], a[180:181], a[52:53], v[8:11]// 000000005B00: D3F30008 1C2269B4
	v_mfma_f32_16x16x32_fp8_fp8 v[8:11], a[182:183], a[54:55], v[8:11]// 000000005B08: D3F30008 1C226DB6
	buffer_load_dword v89, s[20:23], 0 offen lds               // 000000005B10: E0511000 80050059
	s_add_u32 m0, 0, s50                                       // 000000005B18: 807C3280
	v_fma_f32 v152, v12, v6, v152                              // 000000005B1C: D1CB0098 06620D0C
	v_fma_f32 v153, v13, v6, v153                              // 000000005B24: D1CB0099 06660D0D
	v_fma_f32 v154, v14, v6, v154                              // 000000005B2C: D1CB009A 066A0D0E
	v_fma_f32 v155, v15, v6, v155                              // 000000005B34: D1CB009B 066E0D0F
	v_mfma_f32_16x16x32_fp8_fp8 v[12:15], a[184:185], a[48:49], 0// 000000005B3C: D3F3000C 1A0261B8
	v_mfma_f32_16x16x32_fp8_fp8 v[12:15], a[186:187], a[50:51], v[12:15]// 000000005B44: D3F3000C 1C3265BA
	buffer_load_dword v50, v30, s[28:31], 0 offen              // 000000005B4C: E0501000 8007321E
	v_mfma_f32_16x16x32_fp8_fp8 v[12:15], a[188:189], a[52:53], v[12:15]// 000000005B54: D3F3000C 1C3269BC
	v_mfma_f32_16x16x32_fp8_fp8 v[12:15], a[190:191], a[54:55], v[12:15]// 000000005B5C: D3F3000C 1C326DBE
	buffer_load_dword v51, v31, s[28:31], 0 offen              // 000000005B64: E0501000 8007331F
	v_fma_f32 v116, v8, v4, v116                               // 000000005B6C: D1CB0074 05D20908
	v_fma_f32 v117, v9, v4, v117                               // 000000005B74: D1CB0075 05D60909
	v_fma_f32 v118, v10, v4, v118                              // 000000005B7C: D1CB0076 05DA090A
	v_fma_f32 v119, v11, v4, v119                              // 000000005B84: D1CB0077 05DE090B
	v_mul_f32_dpp v6, v26, v67 row_newbcast:0 row_mask:0xf bank_mask:0xf// 000000005B8C: 0A0C86FA FF01501A
	v_mfma_f32_16x16x32_fp8_fp8 v[8:11], a[176:177], a[56:57], 0// 000000005B94: D3F30008 1A0271B0
	v_mfma_f32_16x16x32_fp8_fp8 v[8:11], a[178:179], a[58:59], v[8:11]// 000000005B9C: D3F30008 1C2275B2
	buffer_load_dword v52, v32, s[28:31], 0 offen              // 000000005BA4: E0501000 80073420
	v_mfma_f32_16x16x32_fp8_fp8 v[8:11], a[180:181], a[60:61], v[8:11]// 000000005BAC: D3F30008 1C2279B4
	v_mfma_f32_16x16x32_fp8_fp8 v[8:11], a[182:183], a[62:63], v[8:11]// 000000005BB4: D3F30008 1C227DB6
	buffer_load_dword v53, v33, s[28:31], 0 offen              // 000000005BBC: E0501000 80073521
	v_fma_f32 v156, v12, v4, v156                              // 000000005BC4: D1CB009C 0672090C
	v_fma_f32 v157, v13, v4, v157                              // 000000005BCC: D1CB009D 0676090D
	v_fma_f32 v158, v14, v4, v158                              // 000000005BD4: D1CB009E 067A090E
	v_fma_f32 v159, v15, v4, v159                              // 000000005BDC: D1CB009F 067E090F
	v_mfma_f32_16x16x32_fp8_fp8 v[12:15], a[184:185], a[56:57], 0// 000000005BE4: D3F3000C 1A0271B8
	v_mfma_f32_16x16x32_fp8_fp8 v[12:15], a[186:187], a[58:59], v[12:15]// 000000005BEC: D3F3000C 1C3275BA
	buffer_load_dword v54, v34, s[28:31], 0 offen              // 000000005BF4: E0501000 80073622
	v_mfma_f32_16x16x32_fp8_fp8 v[12:15], a[188:189], a[60:61], v[12:15]// 000000005BFC: D3F3000C 1C3279BC
	v_mfma_f32_16x16x32_fp8_fp8 v[12:15], a[190:191], a[62:63], v[12:15]// 000000005C04: D3F3000C 1C327DBE
	buffer_load_dword v55, v35, s[28:31], 0 offen              // 000000005C0C: E0501000 80073723
	v_fma_f32 v120, v8, v6, v120                               // 000000005C14: D1CB0078 05E20D08
	v_fma_f32 v121, v9, v6, v121                               // 000000005C1C: D1CB0079 05E60D09
	v_fma_f32 v122, v10, v6, v122                              // 000000005C24: D1CB007A 05EA0D0A
	v_fma_f32 v123, v11, v6, v123                              // 000000005C2C: D1CB007B 05EE0D0B
	v_mul_f32_dpp v4, v26, v68 row_newbcast:0 row_mask:0xf bank_mask:0xf// 000000005C34: 0A0888FA FF01501A
	v_mfma_f32_16x16x32_fp8_fp8 v[8:11], a[176:177], a[64:65], 0// 000000005C3C: D3F30008 1A0281B0
	v_mfma_f32_16x16x32_fp8_fp8 v[8:11], a[178:179], a[66:67], v[8:11]// 000000005C44: D3F30008 1C2285B2
	buffer_load_dword v56, v36, s[28:31], 0 offen              // 000000005C4C: E0501000 80073824
	v_mfma_f32_16x16x32_fp8_fp8 v[8:11], a[180:181], a[68:69], v[8:11]// 000000005C54: D3F30008 1C2289B4
	v_mfma_f32_16x16x32_fp8_fp8 v[8:11], a[182:183], a[70:71], v[8:11]// 000000005C5C: D3F30008 1C228DB6
	buffer_load_dword v57, v37, s[28:31], 0 offen              // 000000005C64: E0501000 80073925
	v_fma_f32 v160, v12, v6, v160                              // 000000005C6C: D1CB00A0 06820D0C
	v_fma_f32 v161, v13, v6, v161                              // 000000005C74: D1CB00A1 06860D0D
	v_fma_f32 v162, v14, v6, v162                              // 000000005C7C: D1CB00A2 068A0D0E
	v_fma_f32 v163, v15, v6, v163                              // 000000005C84: D1CB00A3 068E0D0F
	v_mfma_f32_16x16x32_fp8_fp8 v[12:15], a[184:185], a[64:65], 0// 000000005C8C: D3F3000C 1A0281B8
	v_mfma_f32_16x16x32_fp8_fp8 v[12:15], a[186:187], a[66:67], v[12:15]// 000000005C94: D3F3000C 1C3285BA
	buffer_load_dword v58, v38, s[28:31], 0 offen              // 000000005C9C: E0501000 80073A26
	v_mfma_f32_16x16x32_fp8_fp8 v[12:15], a[188:189], a[68:69], v[12:15]// 000000005CA4: D3F3000C 1C3289BC
	v_mfma_f32_16x16x32_fp8_fp8 v[12:15], a[190:191], a[70:71], v[12:15]// 000000005CAC: D3F3000C 1C328DBE
	buffer_load_dword v59, v39, s[28:31], 0 offen              // 000000005CB4: E0501000 80073B27
	v_fma_f32 v124, v8, v4, v124                               // 000000005CBC: D1CB007C 05F20908
	v_fma_f32 v125, v9, v4, v125                               // 000000005CC4: D1CB007D 05F60909
	v_fma_f32 v126, v10, v4, v126                              // 000000005CCC: D1CB007E 05FA090A
	v_fma_f32 v127, v11, v4, v127                              // 000000005CD4: D1CB007F 05FE090B
	v_mul_f32_dpp v6, v26, v69 row_newbcast:0 row_mask:0xf bank_mask:0xf// 000000005CDC: 0A0C8AFA FF01501A
	v_mfma_f32_16x16x32_fp8_fp8 v[8:11], a[176:177], a[72:73], 0// 000000005CE4: D3F30008 1A0291B0
	v_mfma_f32_16x16x32_fp8_fp8 v[8:11], a[178:179], a[74:75], v[8:11]// 000000005CEC: D3F30008 1C2295B2
	v_mfma_f32_16x16x32_fp8_fp8 v[8:11], a[180:181], a[76:77], v[8:11]// 000000005CF4: D3F30008 1C2299B4
	v_mfma_f32_16x16x32_fp8_fp8 v[8:11], a[182:183], a[78:79], v[8:11]// 000000005CFC: D3F30008 1C229DB6
	v_fma_f32 v164, v12, v4, v164                              // 000000005D04: D1CB00A4 0692090C
	v_fma_f32 v165, v13, v4, v165                              // 000000005D0C: D1CB00A5 0696090D
	v_fma_f32 v166, v14, v4, v166                              // 000000005D14: D1CB00A6 069A090E
	v_fma_f32 v167, v15, v4, v167                              // 000000005D1C: D1CB00A7 069E090F
	v_mfma_f32_16x16x32_fp8_fp8 v[12:15], a[184:185], a[72:73], 0// 000000005D24: D3F3000C 1A0291B8
	v_mfma_f32_16x16x32_fp8_fp8 v[12:15], a[186:187], a[74:75], v[12:15]// 000000005D2C: D3F3000C 1C3295BA
	v_mfma_f32_16x16x32_fp8_fp8 v[12:15], a[188:189], a[76:77], v[12:15]// 000000005D34: D3F3000C 1C3299BC
	v_mfma_f32_16x16x32_fp8_fp8 v[12:15], a[190:191], a[78:79], v[12:15]// 000000005D3C: D3F3000C 1C329DBE
	v_fma_f32 v128, v8, v6, v128                               // 000000005D44: D1CB0080 06020D08
	v_fma_f32 v129, v9, v6, v129                               // 000000005D4C: D1CB0081 06060D09
	v_fma_f32 v130, v10, v6, v130                              // 000000005D54: D1CB0082 060A0D0A
	v_fma_f32 v131, v11, v6, v131                              // 000000005D5C: D1CB0083 060E0D0B
	v_fma_f32 v168, v12, v6, v168                              // 000000005D64: D1CB00A8 06A20D0C
	v_fma_f32 v169, v13, v6, v169                              // 000000005D6C: D1CB00A9 06A60D0D
	v_fma_f32 v170, v14, v6, v170                              // 000000005D74: D1CB00AA 06AA0D0E
	v_fma_f32 v171, v15, v6, v171                              // 000000005D7C: D1CB00AB 06AE0D0F
	s_waitcnt vmcnt(35)                                        // 000000005D84: BF8C8F73
	s_barrier                                                  // 000000005D88: BF8A0000
	v_mul_f32_dpp v4, v29, v60 row_newbcast:0 row_mask:0xf bank_mask:0xf// 000000005D8C: 0A0878FA FF01501D
	v_mfma_f32_16x16x32_fp8_fp8 v[8:11], a[192:193], a[0:1], 0 // 000000005D94: D3F30008 1A0201C0
	buffer_load_dword v27, v23, s[32:35], 0 offen              // 000000005D9C: E0501000 80081B17
	v_mfma_f32_16x16x32_fp8_fp8 v[8:11], a[194:195], a[2:3], v[8:11]// 000000005DA4: D3F30008 1C2205C2
	buffer_load_dwordx4 a[176:179], v90, s[84:87], 0 offen     // 000000005DAC: E05C1000 8095B05A
	v_mfma_f32_16x16x32_fp8_fp8 v[8:11], a[196:197], a[4:5], v[8:11]// 000000005DB4: D3F30008 1C2209C4
	v_mfma_f32_16x16x32_fp8_fp8 v[8:11], a[198:199], a[6:7], v[8:11]// 000000005DBC: D3F30008 1C220DC6
	ds_read_b128 a[80:83], v2                                  // 000000005DC4: DBFE0000 50000002
	ds_read_b128 a[84:87], v2 offset:64                        // 000000005DCC: DBFE0040 54000002
	v_mfma_f32_16x16x32_fp8_fp8 v[12:15], a[200:201], a[0:1], 0// 000000005DD4: D3F3000C 1A0201C8
	v_mfma_f32_16x16x32_fp8_fp8 v[12:15], a[202:203], a[2:3], v[12:15]// 000000005DDC: D3F3000C 1C3205CA
	buffer_load_dwordx4 a[180:183], v90, s[84:87], 0 offen offset:1024// 000000005DE4: E05C1400 8095B45A
	v_mfma_f32_16x16x32_fp8_fp8 v[12:15], a[204:205], a[4:5], v[12:15]// 000000005DEC: D3F3000C 1C3209CC
	v_mfma_f32_16x16x32_fp8_fp8 v[12:15], a[206:207], a[6:7], v[12:15]// 000000005DF4: D3F3000C 1C320DCE
	ds_read_b128 a[88:91], v2 offset:512                       // 000000005DFC: DBFE0200 58000002
	ds_read_b128 a[92:95], v2 offset:576                       // 000000005E04: DBFE0240 5C000002
	v_fma_f32 v172, v8, v4, v172                               // 000000005E0C: D1CB00AC 06B20908
	v_fma_f32 v173, v9, v4, v173                               // 000000005E14: D1CB00AD 06B60909
	v_fma_f32 v174, v10, v4, v174                              // 000000005E1C: D1CB00AE 06BA090A
	v_fma_f32 v175, v11, v4, v175                              // 000000005E24: D1CB00AF 06BE090B
	v_mul_f32_dpp v6, v29, v61 row_newbcast:0 row_mask:0xf bank_mask:0xf// 000000005E2C: 0A0C7AFA FF01501D
	v_mfma_f32_16x16x32_fp8_fp8 v[8:11], a[192:193], a[8:9], 0 // 000000005E34: D3F30008 1A0211C0
	v_mfma_f32_16x16x32_fp8_fp8 v[8:11], a[194:195], a[10:11], v[8:11]// 000000005E3C: D3F30008 1C2215C2
	buffer_load_dwordx4 a[184:187], v91, s[84:87], 0 offen     // 000000005E44: E05C1000 8095B85B
	v_mfma_f32_16x16x32_fp8_fp8 v[8:11], a[196:197], a[12:13], v[8:11]// 000000005E4C: D3F30008 1C2219C4
	v_mfma_f32_16x16x32_fp8_fp8 v[8:11], a[198:199], a[14:15], v[8:11]// 000000005E54: D3F30008 1C221DC6
	ds_read_b128 a[96:99], v2 offset:1024                      // 000000005E5C: DBFE0400 60000002
	ds_read_b128 a[100:103], v2 offset:1088                    // 000000005E64: DBFE0440 64000002
	v_fma_f32 v212, v12, v4, v212                              // 000000005E6C: D1CB00D4 0752090C
	v_fma_f32 v213, v13, v4, v213                              // 000000005E74: D1CB00D5 0756090D
	v_fma_f32 v214, v14, v4, v214                              // 000000005E7C: D1CB00D6 075A090E
	v_fma_f32 v215, v15, v4, v215                              // 000000005E84: D1CB00D7 075E090F
	v_mfma_f32_16x16x32_fp8_fp8 v[12:15], a[200:201], a[8:9], 0// 000000005E8C: D3F3000C 1A0211C8
	v_mfma_f32_16x16x32_fp8_fp8 v[12:15], a[202:203], a[10:11], v[12:15]// 000000005E94: D3F3000C 1C3215CA
	buffer_load_dwordx4 a[188:191], v91, s[84:87], 0 offen offset:1024// 000000005E9C: E05C1400 8095BC5B
	v_mfma_f32_16x16x32_fp8_fp8 v[12:15], a[204:205], a[12:13], v[12:15]// 000000005EA4: D3F3000C 1C3219CC
	v_mfma_f32_16x16x32_fp8_fp8 v[12:15], a[206:207], a[14:15], v[12:15]// 000000005EAC: D3F3000C 1C321DCE
	ds_read_b128 a[104:107], v2 offset:1536                    // 000000005EB4: DBFE0600 68000002
	ds_read_b128 a[108:111], v2 offset:1600                    // 000000005EBC: DBFE0640 6C000002
	v_fma_f32 v176, v8, v6, v176                               // 000000005EC4: D1CB00B0 06C20D08
	v_fma_f32 v177, v9, v6, v177                               // 000000005ECC: D1CB00B1 06C60D09
	v_fma_f32 v178, v10, v6, v178                              // 000000005ED4: D1CB00B2 06CA0D0A
	v_fma_f32 v179, v11, v6, v179                              // 000000005EDC: D1CB00B3 06CE0D0B
	v_mul_f32_dpp v4, v29, v62 row_newbcast:0 row_mask:0xf bank_mask:0xf// 000000005EE4: 0A087CFA FF01501D
	v_mfma_f32_16x16x32_fp8_fp8 v[8:11], a[192:193], a[16:17], 0// 000000005EEC: D3F30008 1A0221C0
	v_mfma_f32_16x16x32_fp8_fp8 v[8:11], a[194:195], a[18:19], v[8:11]// 000000005EF4: D3F30008 1C2225C2
	v_mfma_f32_16x16x32_fp8_fp8 v[8:11], a[196:197], a[20:21], v[8:11]// 000000005EFC: D3F30008 1C2229C4
	v_mfma_f32_16x16x32_fp8_fp8 v[8:11], a[198:199], a[22:23], v[8:11]// 000000005F04: D3F30008 1C222DC6
	ds_read_b128 a[112:115], v2 offset:2048                    // 000000005F0C: DBFE0800 70000002
	ds_read_b128 a[116:119], v2 offset:2112                    // 000000005F14: DBFE0840 74000002
	v_fma_f32 v216, v12, v6, v216                              // 000000005F1C: D1CB00D8 07620D0C
	v_fma_f32 v217, v13, v6, v217                              // 000000005F24: D1CB00D9 07660D0D
	v_fma_f32 v218, v14, v6, v218                              // 000000005F2C: D1CB00DA 076A0D0E
	v_fma_f32 v219, v15, v6, v219                              // 000000005F34: D1CB00DB 076E0D0F
	v_mfma_f32_16x16x32_fp8_fp8 v[12:15], a[200:201], a[16:17], 0// 000000005F3C: D3F3000C 1A0221C8
	v_mfma_f32_16x16x32_fp8_fp8 v[12:15], a[202:203], a[18:19], v[12:15]// 000000005F44: D3F3000C 1C3225CA
	v_mfma_f32_16x16x32_fp8_fp8 v[12:15], a[204:205], a[20:21], v[12:15]// 000000005F4C: D3F3000C 1C3229CC
	v_mfma_f32_16x16x32_fp8_fp8 v[12:15], a[206:207], a[22:23], v[12:15]// 000000005F54: D3F3000C 1C322DCE
	ds_read_b128 a[120:123], v2 offset:2560                    // 000000005F5C: DBFE0A00 78000002
	ds_read_b128 a[124:127], v2 offset:2624                    // 000000005F64: DBFE0A40 7C000002
	v_fma_f32 v180, v8, v4, v180                               // 000000005F6C: D1CB00B4 06D20908
	v_fma_f32 v181, v9, v4, v181                               // 000000005F74: D1CB00B5 06D60909
	v_fma_f32 v182, v10, v4, v182                              // 000000005F7C: D1CB00B6 06DA090A
	v_fma_f32 v183, v11, v4, v183                              // 000000005F84: D1CB00B7 06DE090B
	v_mul_f32_dpp v6, v29, v63 row_newbcast:0 row_mask:0xf bank_mask:0xf// 000000005F8C: 0A0C7EFA FF01501D
	v_mfma_f32_16x16x32_fp8_fp8 v[8:11], a[192:193], a[24:25], 0// 000000005F94: D3F30008 1A0231C0
	v_mfma_f32_16x16x32_fp8_fp8 v[8:11], a[194:195], a[26:27], v[8:11]// 000000005F9C: D3F30008 1C2235C2
	v_mfma_f32_16x16x32_fp8_fp8 v[8:11], a[196:197], a[28:29], v[8:11]// 000000005FA4: D3F30008 1C2239C4
	v_mfma_f32_16x16x32_fp8_fp8 v[8:11], a[198:199], a[30:31], v[8:11]// 000000005FAC: D3F30008 1C223DC6
	ds_read_b128 a[128:131], v2 offset:3072                    // 000000005FB4: DBFE0C00 80000002
	ds_read_b128 a[132:135], v2 offset:3136                    // 000000005FBC: DBFE0C40 84000002
	v_fma_f32 v220, v12, v4, v220                              // 000000005FC4: D1CB00DC 0772090C
	v_fma_f32 v221, v13, v4, v221                              // 000000005FCC: D1CB00DD 0776090D
	v_fma_f32 v222, v14, v4, v222                              // 000000005FD4: D1CB00DE 077A090E
	v_fma_f32 v223, v15, v4, v223                              // 000000005FDC: D1CB00DF 077E090F
	v_mfma_f32_16x16x32_fp8_fp8 v[12:15], a[200:201], a[24:25], 0// 000000005FE4: D3F3000C 1A0231C8
	v_mfma_f32_16x16x32_fp8_fp8 v[12:15], a[202:203], a[26:27], v[12:15]// 000000005FEC: D3F3000C 1C3235CA
	v_mfma_f32_16x16x32_fp8_fp8 v[12:15], a[204:205], a[28:29], v[12:15]// 000000005FF4: D3F3000C 1C3239CC
	v_mfma_f32_16x16x32_fp8_fp8 v[12:15], a[206:207], a[30:31], v[12:15]// 000000005FFC: D3F3000C 1C323DCE
	ds_read_b128 a[136:139], v2 offset:3584                    // 000000006004: DBFE0E00 88000002
	ds_read_b128 a[140:143], v2 offset:3648                    // 00000000600C: DBFE0E40 8C000002
	v_fma_f32 v184, v8, v6, v184                               // 000000006014: D1CB00B8 06E20D08
	v_fma_f32 v185, v9, v6, v185                               // 00000000601C: D1CB00B9 06E60D09
	v_fma_f32 v186, v10, v6, v186                              // 000000006024: D1CB00BA 06EA0D0A
	v_fma_f32 v187, v11, v6, v187                              // 00000000602C: D1CB00BB 06EE0D0B
	v_mul_f32_dpp v4, v29, v64 row_newbcast:0 row_mask:0xf bank_mask:0xf// 000000006034: 0A0880FA FF01501D
	v_mfma_f32_16x16x32_fp8_fp8 v[8:11], a[192:193], a[32:33], 0// 00000000603C: D3F30008 1A0241C0
	v_mfma_f32_16x16x32_fp8_fp8 v[8:11], a[194:195], a[34:35], v[8:11]// 000000006044: D3F30008 1C2245C2
	v_mfma_f32_16x16x32_fp8_fp8 v[8:11], a[196:197], a[36:37], v[8:11]// 00000000604C: D3F30008 1C2249C4
	v_mfma_f32_16x16x32_fp8_fp8 v[8:11], a[198:199], a[38:39], v[8:11]// 000000006054: D3F30008 1C224DC6
	ds_read_b128 a[144:147], v2 offset:4096                    // 00000000605C: DBFE1000 90000002
	ds_read_b128 a[148:151], v2 offset:4160                    // 000000006064: DBFE1040 94000002
	v_fma_f32 v224, v12, v6, v224                              // 00000000606C: D1CB00E0 07820D0C
	v_fma_f32 v225, v13, v6, v225                              // 000000006074: D1CB00E1 07860D0D
	v_fma_f32 v226, v14, v6, v226                              // 00000000607C: D1CB00E2 078A0D0E
	v_fma_f32 v227, v15, v6, v227                              // 000000006084: D1CB00E3 078E0D0F
	v_mfma_f32_16x16x32_fp8_fp8 v[12:15], a[200:201], a[32:33], 0// 00000000608C: D3F3000C 1A0241C8
	v_mfma_f32_16x16x32_fp8_fp8 v[12:15], a[202:203], a[34:35], v[12:15]// 000000006094: D3F3000C 1C3245CA
	v_mfma_f32_16x16x32_fp8_fp8 v[12:15], a[204:205], a[36:37], v[12:15]// 00000000609C: D3F3000C 1C3249CC
	v_mfma_f32_16x16x32_fp8_fp8 v[12:15], a[206:207], a[38:39], v[12:15]// 0000000060A4: D3F3000C 1C324DCE
	ds_read_b128 a[152:155], v2 offset:4608                    // 0000000060AC: DBFE1200 98000002
	ds_read_b128 a[156:159], v2 offset:4672                    // 0000000060B4: DBFE1240 9C000002
	v_fma_f32 v188, v8, v4, v188                               // 0000000060BC: D1CB00BC 06F20908
	v_fma_f32 v189, v9, v4, v189                               // 0000000060C4: D1CB00BD 06F60909
	v_fma_f32 v190, v10, v4, v190                              // 0000000060CC: D1CB00BE 06FA090A
	v_fma_f32 v191, v11, v4, v191                              // 0000000060D4: D1CB00BF 06FE090B
	v_mul_f32_dpp v6, v29, v65 row_newbcast:0 row_mask:0xf bank_mask:0xf// 0000000060DC: 0A0C82FA FF01501D
	v_mfma_f32_16x16x32_fp8_fp8 v[8:11], a[192:193], a[40:41], 0// 0000000060E4: D3F30008 1A0251C0
	v_mfma_f32_16x16x32_fp8_fp8 v[8:11], a[194:195], a[42:43], v[8:11]// 0000000060EC: D3F30008 1C2255C2
	v_mfma_f32_16x16x32_fp8_fp8 v[8:11], a[196:197], a[44:45], v[8:11]// 0000000060F4: D3F30008 1C2259C4
	v_mfma_f32_16x16x32_fp8_fp8 v[8:11], a[198:199], a[46:47], v[8:11]// 0000000060FC: D3F30008 1C225DC6
	v_fma_f32 v228, v12, v4, v228                              // 000000006104: D1CB00E4 0792090C
	v_fma_f32 v229, v13, v4, v229                              // 00000000610C: D1CB00E5 0796090D
	v_fma_f32 v230, v14, v4, v230                              // 000000006114: D1CB00E6 079A090E
	v_fma_f32 v231, v15, v4, v231                              // 00000000611C: D1CB00E7 079E090F
	v_mfma_f32_16x16x32_fp8_fp8 v[12:15], a[200:201], a[40:41], 0// 000000006124: D3F3000C 1A0251C8
	v_mfma_f32_16x16x32_fp8_fp8 v[12:15], a[202:203], a[42:43], v[12:15]// 00000000612C: D3F3000C 1C3255CA
	v_mfma_f32_16x16x32_fp8_fp8 v[12:15], a[204:205], a[44:45], v[12:15]// 000000006134: D3F3000C 1C3259CC
	v_mfma_f32_16x16x32_fp8_fp8 v[12:15], a[206:207], a[46:47], v[12:15]// 00000000613C: D3F3000C 1C325DCE
	v_fma_f32 v192, v8, v6, v192                               // 000000006144: D1CB00C0 07020D08
	v_fma_f32 v193, v9, v6, v193                               // 00000000614C: D1CB00C1 07060D09
	v_fma_f32 v194, v10, v6, v194                              // 000000006154: D1CB00C2 070A0D0A
	v_fma_f32 v195, v11, v6, v195                              // 00000000615C: D1CB00C3 070E0D0B
	v_mul_f32_dpp v4, v29, v66 row_newbcast:0 row_mask:0xf bank_mask:0xf// 000000006164: 0A0884FA FF01501D
	v_mfma_f32_16x16x32_fp8_fp8 v[8:11], a[192:193], a[48:49], 0// 00000000616C: D3F30008 1A0261C0
	v_mfma_f32_16x16x32_fp8_fp8 v[8:11], a[194:195], a[50:51], v[8:11]// 000000006174: D3F30008 1C2265C2
	v_mfma_f32_16x16x32_fp8_fp8 v[8:11], a[196:197], a[52:53], v[8:11]// 00000000617C: D3F30008 1C2269C4
	v_mfma_f32_16x16x32_fp8_fp8 v[8:11], a[198:199], a[54:55], v[8:11]// 000000006184: D3F30008 1C226DC6
	v_fma_f32 v232, v12, v6, v232                              // 00000000618C: D1CB00E8 07A20D0C
	v_fma_f32 v233, v13, v6, v233                              // 000000006194: D1CB00E9 07A60D0D
	v_fma_f32 v234, v14, v6, v234                              // 00000000619C: D1CB00EA 07AA0D0E
	v_fma_f32 v235, v15, v6, v235                              // 0000000061A4: D1CB00EB 07AE0D0F
	v_mfma_f32_16x16x32_fp8_fp8 v[12:15], a[200:201], a[48:49], 0// 0000000061AC: D3F3000C 1A0261C8
	v_mfma_f32_16x16x32_fp8_fp8 v[12:15], a[202:203], a[50:51], v[12:15]// 0000000061B4: D3F3000C 1C3265CA
	v_mfma_f32_16x16x32_fp8_fp8 v[12:15], a[204:205], a[52:53], v[12:15]// 0000000061BC: D3F3000C 1C3269CC
	v_mfma_f32_16x16x32_fp8_fp8 v[12:15], a[206:207], a[54:55], v[12:15]// 0000000061C4: D3F3000C 1C326DCE
	v_fma_f32 v196, v8, v4, v196                               // 0000000061CC: D1CB00C4 07120908
	v_fma_f32 v197, v9, v4, v197                               // 0000000061D4: D1CB00C5 07160909
	v_fma_f32 v198, v10, v4, v198                              // 0000000061DC: D1CB00C6 071A090A
	v_fma_f32 v199, v11, v4, v199                              // 0000000061E4: D1CB00C7 071E090B
	v_mul_f32_dpp v6, v29, v67 row_newbcast:0 row_mask:0xf bank_mask:0xf// 0000000061EC: 0A0C86FA FF01501D
	v_mfma_f32_16x16x32_fp8_fp8 v[8:11], a[192:193], a[56:57], 0// 0000000061F4: D3F30008 1A0271C0
	v_mfma_f32_16x16x32_fp8_fp8 v[8:11], a[194:195], a[58:59], v[8:11]// 0000000061FC: D3F30008 1C2275C2
	v_mfma_f32_16x16x32_fp8_fp8 v[8:11], a[196:197], a[60:61], v[8:11]// 000000006204: D3F30008 1C2279C4
	v_mfma_f32_16x16x32_fp8_fp8 v[8:11], a[198:199], a[62:63], v[8:11]// 00000000620C: D3F30008 1C227DC6
	v_fma_f32 v236, v12, v4, v236                              // 000000006214: D1CB00EC 07B2090C
	v_fma_f32 v237, v13, v4, v237                              // 00000000621C: D1CB00ED 07B6090D
	v_fma_f32 v238, v14, v4, v238                              // 000000006224: D1CB00EE 07BA090E
	v_fma_f32 v239, v15, v4, v239                              // 00000000622C: D1CB00EF 07BE090F
	v_mfma_f32_16x16x32_fp8_fp8 v[12:15], a[200:201], a[56:57], 0// 000000006234: D3F3000C 1A0271C8
	v_mfma_f32_16x16x32_fp8_fp8 v[12:15], a[202:203], a[58:59], v[12:15]// 00000000623C: D3F3000C 1C3275CA
	v_mfma_f32_16x16x32_fp8_fp8 v[12:15], a[204:205], a[60:61], v[12:15]// 000000006244: D3F3000C 1C3279CC
	v_mfma_f32_16x16x32_fp8_fp8 v[12:15], a[206:207], a[62:63], v[12:15]// 00000000624C: D3F3000C 1C327DCE
	v_fma_f32 v200, v8, v6, v200                               // 000000006254: D1CB00C8 07220D08
	v_fma_f32 v201, v9, v6, v201                               // 00000000625C: D1CB00C9 07260D09
	v_fma_f32 v202, v10, v6, v202                              // 000000006264: D1CB00CA 072A0D0A
	v_fma_f32 v203, v11, v6, v203                              // 00000000626C: D1CB00CB 072E0D0B
	v_mul_f32_dpp v4, v29, v68 row_newbcast:0 row_mask:0xf bank_mask:0xf// 000000006274: 0A0888FA FF01501D
	v_mfma_f32_16x16x32_fp8_fp8 v[8:11], a[192:193], a[64:65], 0// 00000000627C: D3F30008 1A0281C0
	v_mfma_f32_16x16x32_fp8_fp8 v[8:11], a[194:195], a[66:67], v[8:11]// 000000006284: D3F30008 1C2285C2
	v_mfma_f32_16x16x32_fp8_fp8 v[8:11], a[196:197], a[68:69], v[8:11]// 00000000628C: D3F30008 1C2289C4
	v_mfma_f32_16x16x32_fp8_fp8 v[8:11], a[198:199], a[70:71], v[8:11]// 000000006294: D3F30008 1C228DC6
	v_fma_f32 v240, v12, v6, v240                              // 00000000629C: D1CB00F0 07C20D0C
	v_fma_f32 v241, v13, v6, v241                              // 0000000062A4: D1CB00F1 07C60D0D
	v_fma_f32 v242, v14, v6, v242                              // 0000000062AC: D1CB00F2 07CA0D0E
	v_fma_f32 v243, v15, v6, v243                              // 0000000062B4: D1CB00F3 07CE0D0F
	v_mfma_f32_16x16x32_fp8_fp8 v[12:15], a[200:201], a[64:65], 0// 0000000062BC: D3F3000C 1A0281C8
	v_mfma_f32_16x16x32_fp8_fp8 v[12:15], a[202:203], a[66:67], v[12:15]// 0000000062C4: D3F3000C 1C3285CA
	v_mfma_f32_16x16x32_fp8_fp8 v[12:15], a[204:205], a[68:69], v[12:15]// 0000000062CC: D3F3000C 1C3289CC
	v_mfma_f32_16x16x32_fp8_fp8 v[12:15], a[206:207], a[70:71], v[12:15]// 0000000062D4: D3F3000C 1C328DCE
	v_fma_f32 v204, v8, v4, v204                               // 0000000062DC: D1CB00CC 07320908
	v_fma_f32 v205, v9, v4, v205                               // 0000000062E4: D1CB00CD 07360909
	v_fma_f32 v206, v10, v4, v206                              // 0000000062EC: D1CB00CE 073A090A
	v_fma_f32 v207, v11, v4, v207                              // 0000000062F4: D1CB00CF 073E090B
	v_mul_f32_dpp v6, v29, v69 row_newbcast:0 row_mask:0xf bank_mask:0xf// 0000000062FC: 0A0C8AFA FF01501D
	v_mfma_f32_16x16x32_fp8_fp8 v[8:11], a[192:193], a[72:73], 0// 000000006304: D3F30008 1A0291C0
	s_add_u32 s60, 0x180, s80                                  // 00000000630C: 803C50FF 00000180
	s_cmp_lt_u32 s60, s81                                      // 000000006314: BF0A513C
	s_cselect_b32 s57, s57, 0                                  // 000000006318: 85398039
	s_cselect_b32 s3, s3, 0                                    // 00000000631C: 85038003
	v_mfma_f32_16x16x32_fp8_fp8 v[8:11], a[194:195], a[74:75], v[8:11]// 000000006320: D3F30008 1C2295C2
	s_add_u32 s60, 0x100, s80                                  // 000000006328: 803C50FF 00000100
	s_cmp_lt_u32 s60, s81                                      // 000000006330: BF0A513C
	s_cselect_b32 s58, s58, 0                                  // 000000006334: 853A803A
	v_mfma_f32_16x16x32_fp8_fp8 v[8:11], a[196:197], a[76:77], v[8:11]// 000000006338: D3F30008 1C2299C4
	s_add_u32 s60, 0x100, s80                                  // 000000006340: 803C50FF 00000100
	s_cmp_lt_u32 s60, s81                                      // 000000006348: BF0A513C
	s_cselect_b32 s83, s83, 0                                  // 00000000634C: 85538053
	s_cselect_b32 s4, s4, 0                                    // 000000006350: 85048004
	v_mfma_f32_16x16x32_fp8_fp8 v[8:11], a[198:199], a[78:79], v[8:11]// 000000006354: D3F30008 1C229DC6
	s_add_u32 s24, s58, s24                                    // 00000000635C: 8018183A
	s_addc_u32 s25, 0, s25                                     // 000000006360: 82191980
	v_fma_f32 v244, v12, v4, v244                              // 000000006364: D1CB00F4 07D2090C
	v_fma_f32 v245, v13, v4, v245                              // 00000000636C: D1CB00F5 07D6090D
	v_fma_f32 v246, v14, v4, v246                              // 000000006374: D1CB00F6 07DA090E
	v_fma_f32 v247, v15, v4, v247                              // 00000000637C: D1CB00F7 07DE090F
	v_mfma_f32_16x16x32_fp8_fp8 v[12:15], a[200:201], a[72:73], 0// 000000006384: D3F3000C 1A0291C8
	s_add_u32 s20, s57, s20                                    // 00000000638C: 80141439
	s_addc_u32 s21, 0, s21                                     // 000000006390: 82151580
	s_add_u32 s28, s3, s28                                     // 000000006394: 801C1C03
	s_addc_u32 s29, 0, s29                                     // 000000006398: 821D1D80
	v_mfma_f32_16x16x32_fp8_fp8 v[12:15], a[202:203], a[74:75], v[12:15]// 00000000639C: D3F3000C 1C3295CA
	s_add_u32 s84, s83, s84                                    // 0000000063A4: 80545453
	s_addc_u32 s85, 0, s85                                     // 0000000063A8: 82555580
	v_mfma_f32_16x16x32_fp8_fp8 v[12:15], a[204:205], a[76:77], v[12:15]// 0000000063AC: D3F3000C 1C3299CC
	s_add_u32 s32, s4, s32                                     // 0000000063B4: 80202004
	s_addc_u32 s33, 0, s33                                     // 0000000063B8: 82212180
	v_mfma_f32_16x16x32_fp8_fp8 v[12:15], a[206:207], a[78:79], v[12:15]// 0000000063BC: D3F3000C 1C329DCE
	v_fma_f32 v208, v8, v6, v208                               // 0000000063C4: D1CB00D0 07420D08
	v_fma_f32 v209, v9, v6, v209                               // 0000000063CC: D1CB00D1 07460D09
	v_fma_f32 v210, v10, v6, v210                              // 0000000063D4: D1CB00D2 074A0D0A
	v_fma_f32 v211, v11, v6, v211                              // 0000000063DC: D1CB00D3 074E0D0B
	v_fma_f32 v248, v12, v6, v248                              // 0000000063E4: D1CB00F8 07E20D0C
	v_fma_f32 v249, v13, v6, v249                              // 0000000063EC: D1CB00F9 07E60D0D
	v_fma_f32 v250, v14, v6, v250                              // 0000000063F4: D1CB00FA 07EA0D0E
	v_fma_f32 v251, v15, v6, v251                              // 0000000063FC: D1CB00FB 07EE0D0F
	s_addk_i32 s80, 0x80                                       // 000000006404: B7500080
	s_cmp_lt_i32 s80, s81                                      // 000000006408: BF045150
	s_cbranch_scc0 label_18B4                                  // 00000000640C: BF840A30
	s_waitcnt vmcnt(35) lgkmcnt(0)                             // 000000006410: BF8C8073
	v_mul_f32_dpp v4, v24, v40 row_newbcast:0 row_mask:0xf bank_mask:0xf// 000000006414: 0A0850FA FF015018
	v_mfma_f32_16x16x32_fp8_fp8 v[8:11], a[160:161], a[80:81], 0// 00000000641C: D3F30008 1A02A1A0
	buffer_load_dword v25, v22, s[32:35], 0 offen              // 000000006424: E0501000 80081916
	v_mfma_f32_16x16x32_fp8_fp8 v[8:11], a[162:163], a[82:83], v[8:11]// 00000000642C: D3F30008 1C22A5A2
	buffer_load_dwordx4 a[192:195], v90, s[24:27], 0 offen     // 000000006434: E05C1000 8086C05A
	v_mfma_f32_16x16x32_fp8_fp8 v[8:11], a[164:165], a[84:85], v[8:11]// 00000000643C: D3F30008 1C22A9A4
	v_mfma_f32_16x16x32_fp8_fp8 v[8:11], a[166:167], a[86:87], v[8:11]// 000000006444: D3F30008 1C22ADA6
	v_mfma_f32_16x16x32_fp8_fp8 v[12:15], a[168:169], a[80:81], 0// 00000000644C: D3F3000C 1A02A1A8
	v_mfma_f32_16x16x32_fp8_fp8 v[12:15], a[170:171], a[82:83], v[12:15]// 000000006454: D3F3000C 1C32A5AA
	buffer_load_dwordx4 a[196:199], v90, s[24:27], 0 offen offset:1024// 00000000645C: E05C1400 8086C45A
	v_mfma_f32_16x16x32_fp8_fp8 v[12:15], a[172:173], a[84:85], v[12:15]// 000000006464: D3F3000C 1C32A9AC
	v_mfma_f32_16x16x32_fp8_fp8 v[12:15], a[174:175], a[86:87], v[12:15]// 00000000646C: D3F3000C 1C32ADAE
	v_fma_f32 v92, v8, v4, v92                                 // 000000006474: D1CB005C 05720908
	v_fma_f32 v93, v9, v4, v93                                 // 00000000647C: D1CB005D 05760909
	v_fma_f32 v94, v10, v4, v94                                // 000000006484: D1CB005E 057A090A
	v_fma_f32 v95, v11, v4, v95                                // 00000000648C: D1CB005F 057E090B
	v_mul_f32_dpp v6, v24, v41 row_newbcast:0 row_mask:0xf bank_mask:0xf// 000000006494: 0A0C52FA FF015018
	v_mfma_f32_16x16x32_fp8_fp8 v[8:11], a[160:161], a[88:89], 0// 00000000649C: D3F30008 1A02B1A0
	v_mfma_f32_16x16x32_fp8_fp8 v[8:11], a[162:163], a[90:91], v[8:11]// 0000000064A4: D3F30008 1C22B5A2
	buffer_load_dwordx4 a[200:203], v91, s[24:27], 0 offen     // 0000000064AC: E05C1000 8086C85B
	v_mfma_f32_16x16x32_fp8_fp8 v[8:11], a[164:165], a[92:93], v[8:11]// 0000000064B4: D3F30008 1C22B9A4
	v_mfma_f32_16x16x32_fp8_fp8 v[8:11], a[166:167], a[94:95], v[8:11]// 0000000064BC: D3F30008 1C22BDA6
	v_fma_f32 v132, v12, v4, v132                              // 0000000064C4: D1CB0084 0612090C
	v_fma_f32 v133, v13, v4, v133                              // 0000000064CC: D1CB0085 0616090D
	v_fma_f32 v134, v14, v4, v134                              // 0000000064D4: D1CB0086 061A090E
	v_fma_f32 v135, v15, v4, v135                              // 0000000064DC: D1CB0087 061E090F
	v_mfma_f32_16x16x32_fp8_fp8 v[12:15], a[168:169], a[88:89], 0// 0000000064E4: D3F3000C 1A02B1A8
	v_mfma_f32_16x16x32_fp8_fp8 v[12:15], a[170:171], a[90:91], v[12:15]// 0000000064EC: D3F3000C 1C32B5AA
	buffer_load_dwordx4 a[204:207], v91, s[24:27], 0 offen offset:1024// 0000000064F4: E05C1400 8086CC5B
	buffer_load_dword v70, s[20:23], 0 offen lds               // 0000000064FC: E0511000 80050046
	s_add_u32 m0, 0x100, s50                                   // 000000006504: 807C32FF 00000100
	v_mfma_f32_16x16x32_fp8_fp8 v[12:15], a[172:173], a[92:93], v[12:15]// 00000000650C: D3F3000C 1C32B9AC
	v_mfma_f32_16x16x32_fp8_fp8 v[12:15], a[174:175], a[94:95], v[12:15]// 000000006514: D3F3000C 1C32BDAE
	buffer_load_dword v71, s[20:23], 0 offen lds               // 00000000651C: E0511000 80050047
	s_add_u32 m0, 0x200, s50                                   // 000000006524: 807C32FF 00000200
	v_fma_f32 v96, v8, v6, v96                                 // 00000000652C: D1CB0060 05820D08
	v_fma_f32 v97, v9, v6, v97                                 // 000000006534: D1CB0061 05860D09
	v_fma_f32 v98, v10, v6, v98                                // 00000000653C: D1CB0062 058A0D0A
	v_fma_f32 v99, v11, v6, v99                                // 000000006544: D1CB0063 058E0D0B
	v_mul_f32_dpp v4, v24, v42 row_newbcast:0 row_mask:0xf bank_mask:0xf// 00000000654C: 0A0854FA FF015018
	v_mfma_f32_16x16x32_fp8_fp8 v[8:11], a[160:161], a[96:97], 0// 000000006554: D3F30008 1A02C1A0
	v_mfma_f32_16x16x32_fp8_fp8 v[8:11], a[162:163], a[98:99], v[8:11]// 00000000655C: D3F30008 1C22C5A2
	buffer_load_dword v72, s[20:23], 0 offen lds               // 000000006564: E0511000 80050048
	s_add_u32 m0, 0x300, s50                                   // 00000000656C: 807C32FF 00000300
	v_mfma_f32_16x16x32_fp8_fp8 v[8:11], a[164:165], a[100:101], v[8:11]// 000000006574: D3F30008 1C22C9A4
	v_mfma_f32_16x16x32_fp8_fp8 v[8:11], a[166:167], a[102:103], v[8:11]// 00000000657C: D3F30008 1C22CDA6
	buffer_load_dword v73, s[20:23], 0 offen lds               // 000000006584: E0511000 80050049
	s_add_u32 m0, 0x400, s50                                   // 00000000658C: 807C32FF 00000400
	v_fma_f32 v136, v12, v6, v136                              // 000000006594: D1CB0088 06220D0C
	v_fma_f32 v137, v13, v6, v137                              // 00000000659C: D1CB0089 06260D0D
	v_fma_f32 v138, v14, v6, v138                              // 0000000065A4: D1CB008A 062A0D0E
	v_fma_f32 v139, v15, v6, v139                              // 0000000065AC: D1CB008B 062E0D0F
	v_mfma_f32_16x16x32_fp8_fp8 v[12:15], a[168:169], a[96:97], 0// 0000000065B4: D3F3000C 1A02C1A8
	v_mfma_f32_16x16x32_fp8_fp8 v[12:15], a[170:171], a[98:99], v[12:15]// 0000000065BC: D3F3000C 1C32C5AA
	buffer_load_dword v74, s[20:23], 0 offen lds               // 0000000065C4: E0511000 8005004A
	s_add_u32 m0, 0x500, s50                                   // 0000000065CC: 807C32FF 00000500
	v_mfma_f32_16x16x32_fp8_fp8 v[12:15], a[172:173], a[100:101], v[12:15]// 0000000065D4: D3F3000C 1C32C9AC
	v_mfma_f32_16x16x32_fp8_fp8 v[12:15], a[174:175], a[102:103], v[12:15]// 0000000065DC: D3F3000C 1C32CDAE
	buffer_load_dword v75, s[20:23], 0 offen lds               // 0000000065E4: E0511000 8005004B
	s_add_u32 m0, 0x600, s50                                   // 0000000065EC: 807C32FF 00000600
	v_fma_f32 v100, v8, v4, v100                               // 0000000065F4: D1CB0064 05920908
	v_fma_f32 v101, v9, v4, v101                               // 0000000065FC: D1CB0065 05960909
	v_fma_f32 v102, v10, v4, v102                              // 000000006604: D1CB0066 059A090A
	v_fma_f32 v103, v11, v4, v103                              // 00000000660C: D1CB0067 059E090B
	v_mul_f32_dpp v6, v24, v43 row_newbcast:0 row_mask:0xf bank_mask:0xf// 000000006614: 0A0C56FA FF015018
	v_mfma_f32_16x16x32_fp8_fp8 v[8:11], a[160:161], a[104:105], 0// 00000000661C: D3F30008 1A02D1A0
	v_mfma_f32_16x16x32_fp8_fp8 v[8:11], a[162:163], a[106:107], v[8:11]// 000000006624: D3F30008 1C22D5A2
	buffer_load_dword v76, s[20:23], 0 offen lds               // 00000000662C: E0511000 8005004C
	s_add_u32 m0, 0x700, s50                                   // 000000006634: 807C32FF 00000700
	v_mfma_f32_16x16x32_fp8_fp8 v[8:11], a[164:165], a[108:109], v[8:11]// 00000000663C: D3F30008 1C22D9A4
	v_mfma_f32_16x16x32_fp8_fp8 v[8:11], a[166:167], a[110:111], v[8:11]// 000000006644: D3F30008 1C22DDA6
	buffer_load_dword v77, s[20:23], 0 offen lds               // 00000000664C: E0511000 8005004D
	s_add_u32 m0, 0x800, s50                                   // 000000006654: 807C32FF 00000800
	v_fma_f32 v140, v12, v4, v140                              // 00000000665C: D1CB008C 0632090C
	v_fma_f32 v141, v13, v4, v141                              // 000000006664: D1CB008D 0636090D
	v_fma_f32 v142, v14, v4, v142                              // 00000000666C: D1CB008E 063A090E
	v_fma_f32 v143, v15, v4, v143                              // 000000006674: D1CB008F 063E090F
	v_mfma_f32_16x16x32_fp8_fp8 v[12:15], a[168:169], a[104:105], 0// 00000000667C: D3F3000C 1A02D1A8
	v_mfma_f32_16x16x32_fp8_fp8 v[12:15], a[170:171], a[106:107], v[12:15]// 000000006684: D3F3000C 1C32D5AA
	buffer_load_dword v78, s[20:23], 0 offen lds               // 00000000668C: E0511000 8005004E
	s_add_u32 m0, 0x900, s50                                   // 000000006694: 807C32FF 00000900
	v_mfma_f32_16x16x32_fp8_fp8 v[12:15], a[172:173], a[108:109], v[12:15]// 00000000669C: D3F3000C 1C32D9AC
	v_mfma_f32_16x16x32_fp8_fp8 v[12:15], a[174:175], a[110:111], v[12:15]// 0000000066A4: D3F3000C 1C32DDAE
	buffer_load_dword v79, s[20:23], 0 offen lds               // 0000000066AC: E0511000 8005004F
	s_add_u32 m0, 0xa00, s50                                   // 0000000066B4: 807C32FF 00000A00
	v_fma_f32 v104, v8, v6, v104                               // 0000000066BC: D1CB0068 05A20D08
	v_fma_f32 v105, v9, v6, v105                               // 0000000066C4: D1CB0069 05A60D09
	v_fma_f32 v106, v10, v6, v106                              // 0000000066CC: D1CB006A 05AA0D0A
	v_fma_f32 v107, v11, v6, v107                              // 0000000066D4: D1CB006B 05AE0D0B
	v_mul_f32_dpp v4, v24, v44 row_newbcast:0 row_mask:0xf bank_mask:0xf// 0000000066DC: 0A0858FA FF015018
	v_mfma_f32_16x16x32_fp8_fp8 v[8:11], a[160:161], a[112:113], 0// 0000000066E4: D3F30008 1A02E1A0
	v_mfma_f32_16x16x32_fp8_fp8 v[8:11], a[162:163], a[114:115], v[8:11]// 0000000066EC: D3F30008 1C22E5A2
	buffer_load_dword v80, s[20:23], 0 offen lds               // 0000000066F4: E0511000 80050050
	s_add_u32 m0, 0xb00, s50                                   // 0000000066FC: 807C32FF 00000B00
	v_mfma_f32_16x16x32_fp8_fp8 v[8:11], a[164:165], a[116:117], v[8:11]// 000000006704: D3F30008 1C22E9A4
	v_mfma_f32_16x16x32_fp8_fp8 v[8:11], a[166:167], a[118:119], v[8:11]// 00000000670C: D3F30008 1C22EDA6
	buffer_load_dword v81, s[20:23], 0 offen lds               // 000000006714: E0511000 80050051
	s_add_u32 m0, 0xc00, s50                                   // 00000000671C: 807C32FF 00000C00
	v_fma_f32 v144, v12, v6, v144                              // 000000006724: D1CB0090 06420D0C
	v_fma_f32 v145, v13, v6, v145                              // 00000000672C: D1CB0091 06460D0D
	v_fma_f32 v146, v14, v6, v146                              // 000000006734: D1CB0092 064A0D0E
	v_fma_f32 v147, v15, v6, v147                              // 00000000673C: D1CB0093 064E0D0F
	v_mfma_f32_16x16x32_fp8_fp8 v[12:15], a[168:169], a[112:113], 0// 000000006744: D3F3000C 1A02E1A8
	v_mfma_f32_16x16x32_fp8_fp8 v[12:15], a[170:171], a[114:115], v[12:15]// 00000000674C: D3F3000C 1C32E5AA
	buffer_load_dword v82, s[20:23], 0 offen lds               // 000000006754: E0511000 80050052
	s_add_u32 m0, 0xd00, s50                                   // 00000000675C: 807C32FF 00000D00
	v_mfma_f32_16x16x32_fp8_fp8 v[12:15], a[172:173], a[116:117], v[12:15]// 000000006764: D3F3000C 1C32E9AC
	v_mfma_f32_16x16x32_fp8_fp8 v[12:15], a[174:175], a[118:119], v[12:15]// 00000000676C: D3F3000C 1C32EDAE
	buffer_load_dword v83, s[20:23], 0 offen lds               // 000000006774: E0511000 80050053
	s_add_u32 m0, 0xe00, s50                                   // 00000000677C: 807C32FF 00000E00
	v_fma_f32 v108, v8, v4, v108                               // 000000006784: D1CB006C 05B20908
	v_fma_f32 v109, v9, v4, v109                               // 00000000678C: D1CB006D 05B60909
	v_fma_f32 v110, v10, v4, v110                              // 000000006794: D1CB006E 05BA090A
	v_fma_f32 v111, v11, v4, v111                              // 00000000679C: D1CB006F 05BE090B
	v_mul_f32_dpp v6, v24, v45 row_newbcast:0 row_mask:0xf bank_mask:0xf// 0000000067A4: 0A0C5AFA FF015018
	v_mfma_f32_16x16x32_fp8_fp8 v[8:11], a[160:161], a[120:121], 0// 0000000067AC: D3F30008 1A02F1A0
	v_mfma_f32_16x16x32_fp8_fp8 v[8:11], a[162:163], a[122:123], v[8:11]// 0000000067B4: D3F30008 1C22F5A2
	buffer_load_dword v84, s[20:23], 0 offen lds               // 0000000067BC: E0511000 80050054
	s_add_u32 m0, 0xf00, s50                                   // 0000000067C4: 807C32FF 00000F00
	v_mfma_f32_16x16x32_fp8_fp8 v[8:11], a[164:165], a[124:125], v[8:11]// 0000000067CC: D3F30008 1C22F9A4
	v_mfma_f32_16x16x32_fp8_fp8 v[8:11], a[166:167], a[126:127], v[8:11]// 0000000067D4: D3F30008 1C22FDA6
	buffer_load_dword v85, s[20:23], 0 offen lds               // 0000000067DC: E0511000 80050055
	s_add_u32 m0, 0x1000, s50                                  // 0000000067E4: 807C32FF 00001000
	v_fma_f32 v148, v12, v4, v148                              // 0000000067EC: D1CB0094 0652090C
	v_fma_f32 v149, v13, v4, v149                              // 0000000067F4: D1CB0095 0656090D
	v_fma_f32 v150, v14, v4, v150                              // 0000000067FC: D1CB0096 065A090E
	v_fma_f32 v151, v15, v4, v151                              // 000000006804: D1CB0097 065E090F
	v_mfma_f32_16x16x32_fp8_fp8 v[12:15], a[168:169], a[120:121], 0// 00000000680C: D3F3000C 1A02F1A8
	v_mfma_f32_16x16x32_fp8_fp8 v[12:15], a[170:171], a[122:123], v[12:15]// 000000006814: D3F3000C 1C32F5AA
	buffer_load_dword v86, s[20:23], 0 offen lds               // 00000000681C: E0511000 80050056
	s_add_u32 m0, 0x1100, s50                                  // 000000006824: 807C32FF 00001100
	v_mfma_f32_16x16x32_fp8_fp8 v[12:15], a[172:173], a[124:125], v[12:15]// 00000000682C: D3F3000C 1C32F9AC
	v_mfma_f32_16x16x32_fp8_fp8 v[12:15], a[174:175], a[126:127], v[12:15]// 000000006834: D3F3000C 1C32FDAE
	buffer_load_dword v87, s[20:23], 0 offen lds               // 00000000683C: E0511000 80050057
	s_add_u32 m0, 0x1200, s50                                  // 000000006844: 807C32FF 00001200
	v_fma_f32 v112, v8, v6, v112                               // 00000000684C: D1CB0070 05C20D08
	v_fma_f32 v113, v9, v6, v113                               // 000000006854: D1CB0071 05C60D09
	v_fma_f32 v114, v10, v6, v114                              // 00000000685C: D1CB0072 05CA0D0A
	v_fma_f32 v115, v11, v6, v115                              // 000000006864: D1CB0073 05CE0D0B
	v_mul_f32_dpp v4, v24, v46 row_newbcast:0 row_mask:0xf bank_mask:0xf// 00000000686C: 0A085CFA FF015018
	v_mfma_f32_16x16x32_fp8_fp8 v[8:11], a[160:161], a[128:129], 0// 000000006874: D3F30008 1A0301A0
	v_mfma_f32_16x16x32_fp8_fp8 v[8:11], a[162:163], a[130:131], v[8:11]// 00000000687C: D3F30008 1C2305A2
	buffer_load_dword v88, s[20:23], 0 offen lds               // 000000006884: E0511000 80050058
	s_add_u32 m0, 0x1300, s50                                  // 00000000688C: 807C32FF 00001300
	v_mfma_f32_16x16x32_fp8_fp8 v[8:11], a[164:165], a[132:133], v[8:11]// 000000006894: D3F30008 1C2309A4
	v_mfma_f32_16x16x32_fp8_fp8 v[8:11], a[166:167], a[134:135], v[8:11]// 00000000689C: D3F30008 1C230DA6
	buffer_load_dword v89, s[20:23], 0 offen lds               // 0000000068A4: E0511000 80050059
	s_add_u32 m0, 0, s48                                       // 0000000068AC: 807C3080
	v_fma_f32 v152, v12, v6, v152                              // 0000000068B0: D1CB0098 06620D0C
	v_fma_f32 v153, v13, v6, v153                              // 0000000068B8: D1CB0099 06660D0D
	v_fma_f32 v154, v14, v6, v154                              // 0000000068C0: D1CB009A 066A0D0E
	v_fma_f32 v155, v15, v6, v155                              // 0000000068C8: D1CB009B 066E0D0F
	v_mfma_f32_16x16x32_fp8_fp8 v[12:15], a[168:169], a[128:129], 0// 0000000068D0: D3F3000C 1A0301A8
	v_mfma_f32_16x16x32_fp8_fp8 v[12:15], a[170:171], a[130:131], v[12:15]// 0000000068D8: D3F3000C 1C3305AA
	buffer_load_dword v60, v30, s[28:31], 0 offen              // 0000000068E0: E0501000 80073C1E
	v_mfma_f32_16x16x32_fp8_fp8 v[12:15], a[172:173], a[132:133], v[12:15]// 0000000068E8: D3F3000C 1C3309AC
	v_mfma_f32_16x16x32_fp8_fp8 v[12:15], a[174:175], a[134:135], v[12:15]// 0000000068F0: D3F3000C 1C330DAE
	buffer_load_dword v61, v31, s[28:31], 0 offen              // 0000000068F8: E0501000 80073D1F
	v_fma_f32 v116, v8, v4, v116                               // 000000006900: D1CB0074 05D20908
	v_fma_f32 v117, v9, v4, v117                               // 000000006908: D1CB0075 05D60909
	v_fma_f32 v118, v10, v4, v118                              // 000000006910: D1CB0076 05DA090A
	v_fma_f32 v119, v11, v4, v119                              // 000000006918: D1CB0077 05DE090B
	v_mul_f32_dpp v6, v24, v47 row_newbcast:0 row_mask:0xf bank_mask:0xf// 000000006920: 0A0C5EFA FF015018
	v_mfma_f32_16x16x32_fp8_fp8 v[8:11], a[160:161], a[136:137], 0// 000000006928: D3F30008 1A0311A0
	v_mfma_f32_16x16x32_fp8_fp8 v[8:11], a[162:163], a[138:139], v[8:11]// 000000006930: D3F30008 1C2315A2
	buffer_load_dword v62, v32, s[28:31], 0 offen              // 000000006938: E0501000 80073E20
	v_mfma_f32_16x16x32_fp8_fp8 v[8:11], a[164:165], a[140:141], v[8:11]// 000000006940: D3F30008 1C2319A4
	v_mfma_f32_16x16x32_fp8_fp8 v[8:11], a[166:167], a[142:143], v[8:11]// 000000006948: D3F30008 1C231DA6
	buffer_load_dword v63, v33, s[28:31], 0 offen              // 000000006950: E0501000 80073F21
	v_fma_f32 v156, v12, v4, v156                              // 000000006958: D1CB009C 0672090C
	v_fma_f32 v157, v13, v4, v157                              // 000000006960: D1CB009D 0676090D
	v_fma_f32 v158, v14, v4, v158                              // 000000006968: D1CB009E 067A090E
	v_fma_f32 v159, v15, v4, v159                              // 000000006970: D1CB009F 067E090F
	v_mfma_f32_16x16x32_fp8_fp8 v[12:15], a[168:169], a[136:137], 0// 000000006978: D3F3000C 1A0311A8
	v_mfma_f32_16x16x32_fp8_fp8 v[12:15], a[170:171], a[138:139], v[12:15]// 000000006980: D3F3000C 1C3315AA
	buffer_load_dword v64, v34, s[28:31], 0 offen              // 000000006988: E0501000 80074022
	v_mfma_f32_16x16x32_fp8_fp8 v[12:15], a[172:173], a[140:141], v[12:15]// 000000006990: D3F3000C 1C3319AC
	v_mfma_f32_16x16x32_fp8_fp8 v[12:15], a[174:175], a[142:143], v[12:15]// 000000006998: D3F3000C 1C331DAE
	buffer_load_dword v65, v35, s[28:31], 0 offen              // 0000000069A0: E0501000 80074123
	v_fma_f32 v120, v8, v6, v120                               // 0000000069A8: D1CB0078 05E20D08
	v_fma_f32 v121, v9, v6, v121                               // 0000000069B0: D1CB0079 05E60D09
	v_fma_f32 v122, v10, v6, v122                              // 0000000069B8: D1CB007A 05EA0D0A
	v_fma_f32 v123, v11, v6, v123                              // 0000000069C0: D1CB007B 05EE0D0B
	v_mul_f32_dpp v4, v24, v48 row_newbcast:0 row_mask:0xf bank_mask:0xf// 0000000069C8: 0A0860FA FF015018
	v_mfma_f32_16x16x32_fp8_fp8 v[8:11], a[160:161], a[144:145], 0// 0000000069D0: D3F30008 1A0321A0
	v_mfma_f32_16x16x32_fp8_fp8 v[8:11], a[162:163], a[146:147], v[8:11]// 0000000069D8: D3F30008 1C2325A2
	buffer_load_dword v66, v36, s[28:31], 0 offen              // 0000000069E0: E0501000 80074224
	v_mfma_f32_16x16x32_fp8_fp8 v[8:11], a[164:165], a[148:149], v[8:11]// 0000000069E8: D3F30008 1C2329A4
	v_mfma_f32_16x16x32_fp8_fp8 v[8:11], a[166:167], a[150:151], v[8:11]// 0000000069F0: D3F30008 1C232DA6
	buffer_load_dword v67, v37, s[28:31], 0 offen              // 0000000069F8: E0501000 80074325
	v_fma_f32 v160, v12, v6, v160                              // 000000006A00: D1CB00A0 06820D0C
	v_fma_f32 v161, v13, v6, v161                              // 000000006A08: D1CB00A1 06860D0D
	v_fma_f32 v162, v14, v6, v162                              // 000000006A10: D1CB00A2 068A0D0E
	v_fma_f32 v163, v15, v6, v163                              // 000000006A18: D1CB00A3 068E0D0F
	v_mfma_f32_16x16x32_fp8_fp8 v[12:15], a[168:169], a[144:145], 0// 000000006A20: D3F3000C 1A0321A8
	v_mfma_f32_16x16x32_fp8_fp8 v[12:15], a[170:171], a[146:147], v[12:15]// 000000006A28: D3F3000C 1C3325AA
	buffer_load_dword v68, v38, s[28:31], 0 offen              // 000000006A30: E0501000 80074426
	v_mfma_f32_16x16x32_fp8_fp8 v[12:15], a[172:173], a[148:149], v[12:15]// 000000006A38: D3F3000C 1C3329AC
	v_mfma_f32_16x16x32_fp8_fp8 v[12:15], a[174:175], a[150:151], v[12:15]// 000000006A40: D3F3000C 1C332DAE
	buffer_load_dword v69, v39, s[28:31], 0 offen              // 000000006A48: E0501000 80074527
	v_fma_f32 v124, v8, v4, v124                               // 000000006A50: D1CB007C 05F20908
	v_fma_f32 v125, v9, v4, v125                               // 000000006A58: D1CB007D 05F60909
	v_fma_f32 v126, v10, v4, v126                              // 000000006A60: D1CB007E 05FA090A
	v_fma_f32 v127, v11, v4, v127                              // 000000006A68: D1CB007F 05FE090B
	v_mul_f32_dpp v6, v24, v49 row_newbcast:0 row_mask:0xf bank_mask:0xf// 000000006A70: 0A0C62FA FF015018
	v_mfma_f32_16x16x32_fp8_fp8 v[8:11], a[160:161], a[152:153], 0// 000000006A78: D3F30008 1A0331A0
	v_mfma_f32_16x16x32_fp8_fp8 v[8:11], a[162:163], a[154:155], v[8:11]// 000000006A80: D3F30008 1C2335A2
	v_mfma_f32_16x16x32_fp8_fp8 v[8:11], a[164:165], a[156:157], v[8:11]// 000000006A88: D3F30008 1C2339A4
	v_mfma_f32_16x16x32_fp8_fp8 v[8:11], a[166:167], a[158:159], v[8:11]// 000000006A90: D3F30008 1C233DA6
	v_fma_f32 v164, v12, v4, v164                              // 000000006A98: D1CB00A4 0692090C
	v_fma_f32 v165, v13, v4, v165                              // 000000006AA0: D1CB00A5 0696090D
	v_fma_f32 v166, v14, v4, v166                              // 000000006AA8: D1CB00A6 069A090E
	v_fma_f32 v167, v15, v4, v167                              // 000000006AB0: D1CB00A7 069E090F
	v_mfma_f32_16x16x32_fp8_fp8 v[12:15], a[168:169], a[152:153], 0// 000000006AB8: D3F3000C 1A0331A8
	v_mfma_f32_16x16x32_fp8_fp8 v[12:15], a[170:171], a[154:155], v[12:15]// 000000006AC0: D3F3000C 1C3335AA
	v_mfma_f32_16x16x32_fp8_fp8 v[12:15], a[172:173], a[156:157], v[12:15]// 000000006AC8: D3F3000C 1C3339AC
	v_mfma_f32_16x16x32_fp8_fp8 v[12:15], a[174:175], a[158:159], v[12:15]// 000000006AD0: D3F3000C 1C333DAE
	v_fma_f32 v128, v8, v6, v128                               // 000000006AD8: D1CB0080 06020D08
	v_fma_f32 v129, v9, v6, v129                               // 000000006AE0: D1CB0081 06060D09
	v_fma_f32 v130, v10, v6, v130                              // 000000006AE8: D1CB0082 060A0D0A
	v_fma_f32 v131, v11, v6, v131                              // 000000006AF0: D1CB0083 060E0D0B
	v_fma_f32 v168, v12, v6, v168                              // 000000006AF8: D1CB00A8 06A20D0C
	v_fma_f32 v169, v13, v6, v169                              // 000000006B00: D1CB00A9 06A60D0D
	v_fma_f32 v170, v14, v6, v170                              // 000000006B08: D1CB00AA 06AA0D0E
	v_fma_f32 v171, v15, v6, v171                              // 000000006B10: D1CB00AB 06AE0D0F
	s_waitcnt vmcnt(35)                                        // 000000006B18: BF8C8F73
	s_barrier                                                  // 000000006B1C: BF8A0000
	v_mul_f32_dpp v4, v27, v40 row_newbcast:0 row_mask:0xf bank_mask:0xf// 000000006B20: 0A0850FA FF01501B
	v_mfma_f32_16x16x32_fp8_fp8 v[8:11], a[176:177], a[80:81], 0// 000000006B28: D3F30008 1A02A1B0
	buffer_load_dword v28, v23, s[32:35], 0 offen              // 000000006B30: E0501000 80081C17
	v_mfma_f32_16x16x32_fp8_fp8 v[8:11], a[178:179], a[82:83], v[8:11]// 000000006B38: D3F30008 1C22A5B2
	buffer_load_dwordx4 a[160:163], v90, s[84:87], 0 offen     // 000000006B40: E05C1000 8095A05A
	v_mfma_f32_16x16x32_fp8_fp8 v[8:11], a[180:181], a[84:85], v[8:11]// 000000006B48: D3F30008 1C22A9B4
	v_mfma_f32_16x16x32_fp8_fp8 v[8:11], a[182:183], a[86:87], v[8:11]// 000000006B50: D3F30008 1C22ADB6
	ds_read_b128 a[0:3], v2 offset:20608                       // 000000006B58: DBFE5080 00000002
	ds_read_b128 a[4:7], v2 offset:20672                       // 000000006B60: DBFE50C0 04000002
	v_mfma_f32_16x16x32_fp8_fp8 v[12:15], a[184:185], a[80:81], 0// 000000006B68: D3F3000C 1A02A1B8
	v_mfma_f32_16x16x32_fp8_fp8 v[12:15], a[186:187], a[82:83], v[12:15]// 000000006B70: D3F3000C 1C32A5BA
	buffer_load_dwordx4 a[164:167], v90, s[84:87], 0 offen offset:1024// 000000006B78: E05C1400 8095A45A
	v_mfma_f32_16x16x32_fp8_fp8 v[12:15], a[188:189], a[84:85], v[12:15]// 000000006B80: D3F3000C 1C32A9BC
	v_mfma_f32_16x16x32_fp8_fp8 v[12:15], a[190:191], a[86:87], v[12:15]// 000000006B88: D3F3000C 1C32ADBE
	ds_read_b128 a[8:11], v2 offset:21120                      // 000000006B90: DBFE5280 08000002
	ds_read_b128 a[12:15], v2 offset:21184                     // 000000006B98: DBFE52C0 0C000002
	v_fma_f32 v172, v8, v4, v172                               // 000000006BA0: D1CB00AC 06B20908
	v_fma_f32 v173, v9, v4, v173                               // 000000006BA8: D1CB00AD 06B60909
	v_fma_f32 v174, v10, v4, v174                              // 000000006BB0: D1CB00AE 06BA090A
	v_fma_f32 v175, v11, v4, v175                              // 000000006BB8: D1CB00AF 06BE090B
	v_mul_f32_dpp v6, v27, v41 row_newbcast:0 row_mask:0xf bank_mask:0xf// 000000006BC0: 0A0C52FA FF01501B
	v_mfma_f32_16x16x32_fp8_fp8 v[8:11], a[176:177], a[88:89], 0// 000000006BC8: D3F30008 1A02B1B0
	v_mfma_f32_16x16x32_fp8_fp8 v[8:11], a[178:179], a[90:91], v[8:11]// 000000006BD0: D3F30008 1C22B5B2
	buffer_load_dwordx4 a[168:171], v91, s[84:87], 0 offen     // 000000006BD8: E05C1000 8095A85B
	v_mfma_f32_16x16x32_fp8_fp8 v[8:11], a[180:181], a[92:93], v[8:11]// 000000006BE0: D3F30008 1C22B9B4
	v_mfma_f32_16x16x32_fp8_fp8 v[8:11], a[182:183], a[94:95], v[8:11]// 000000006BE8: D3F30008 1C22BDB6
	ds_read_b128 a[16:19], v2 offset:21632                     // 000000006BF0: DBFE5480 10000002
	ds_read_b128 a[20:23], v2 offset:21696                     // 000000006BF8: DBFE54C0 14000002
	v_fma_f32 v212, v12, v4, v212                              // 000000006C00: D1CB00D4 0752090C
	v_fma_f32 v213, v13, v4, v213                              // 000000006C08: D1CB00D5 0756090D
	v_fma_f32 v214, v14, v4, v214                              // 000000006C10: D1CB00D6 075A090E
	v_fma_f32 v215, v15, v4, v215                              // 000000006C18: D1CB00D7 075E090F
	v_mfma_f32_16x16x32_fp8_fp8 v[12:15], a[184:185], a[88:89], 0// 000000006C20: D3F3000C 1A02B1B8
	v_mfma_f32_16x16x32_fp8_fp8 v[12:15], a[186:187], a[90:91], v[12:15]// 000000006C28: D3F3000C 1C32B5BA
	buffer_load_dwordx4 a[172:175], v91, s[84:87], 0 offen offset:1024// 000000006C30: E05C1400 8095AC5B
	v_mfma_f32_16x16x32_fp8_fp8 v[12:15], a[188:189], a[92:93], v[12:15]// 000000006C38: D3F3000C 1C32B9BC
	v_mfma_f32_16x16x32_fp8_fp8 v[12:15], a[190:191], a[94:95], v[12:15]// 000000006C40: D3F3000C 1C32BDBE
	ds_read_b128 a[24:27], v2 offset:22144                     // 000000006C48: DBFE5680 18000002
	ds_read_b128 a[28:31], v2 offset:22208                     // 000000006C50: DBFE56C0 1C000002
	v_fma_f32 v176, v8, v6, v176                               // 000000006C58: D1CB00B0 06C20D08
	v_fma_f32 v177, v9, v6, v177                               // 000000006C60: D1CB00B1 06C60D09
	v_fma_f32 v178, v10, v6, v178                              // 000000006C68: D1CB00B2 06CA0D0A
	v_fma_f32 v179, v11, v6, v179                              // 000000006C70: D1CB00B3 06CE0D0B
	v_mul_f32_dpp v4, v27, v42 row_newbcast:0 row_mask:0xf bank_mask:0xf// 000000006C78: 0A0854FA FF01501B
	v_mfma_f32_16x16x32_fp8_fp8 v[8:11], a[176:177], a[96:97], 0// 000000006C80: D3F30008 1A02C1B0
	v_mfma_f32_16x16x32_fp8_fp8 v[8:11], a[178:179], a[98:99], v[8:11]// 000000006C88: D3F30008 1C22C5B2
	v_mfma_f32_16x16x32_fp8_fp8 v[8:11], a[180:181], a[100:101], v[8:11]// 000000006C90: D3F30008 1C22C9B4
	v_mfma_f32_16x16x32_fp8_fp8 v[8:11], a[182:183], a[102:103], v[8:11]// 000000006C98: D3F30008 1C22CDB6
	ds_read_b128 a[32:35], v2 offset:22656                     // 000000006CA0: DBFE5880 20000002
	ds_read_b128 a[36:39], v2 offset:22720                     // 000000006CA8: DBFE58C0 24000002
	v_fma_f32 v216, v12, v6, v216                              // 000000006CB0: D1CB00D8 07620D0C
	v_fma_f32 v217, v13, v6, v217                              // 000000006CB8: D1CB00D9 07660D0D
	v_fma_f32 v218, v14, v6, v218                              // 000000006CC0: D1CB00DA 076A0D0E
	v_fma_f32 v219, v15, v6, v219                              // 000000006CC8: D1CB00DB 076E0D0F
	v_mfma_f32_16x16x32_fp8_fp8 v[12:15], a[184:185], a[96:97], 0// 000000006CD0: D3F3000C 1A02C1B8
	v_mfma_f32_16x16x32_fp8_fp8 v[12:15], a[186:187], a[98:99], v[12:15]// 000000006CD8: D3F3000C 1C32C5BA
	v_mfma_f32_16x16x32_fp8_fp8 v[12:15], a[188:189], a[100:101], v[12:15]// 000000006CE0: D3F3000C 1C32C9BC
	v_mfma_f32_16x16x32_fp8_fp8 v[12:15], a[190:191], a[102:103], v[12:15]// 000000006CE8: D3F3000C 1C32CDBE
	ds_read_b128 a[40:43], v2 offset:23168                     // 000000006CF0: DBFE5A80 28000002
	ds_read_b128 a[44:47], v2 offset:23232                     // 000000006CF8: DBFE5AC0 2C000002
	v_fma_f32 v180, v8, v4, v180                               // 000000006D00: D1CB00B4 06D20908
	v_fma_f32 v181, v9, v4, v181                               // 000000006D08: D1CB00B5 06D60909
	v_fma_f32 v182, v10, v4, v182                              // 000000006D10: D1CB00B6 06DA090A
	v_fma_f32 v183, v11, v4, v183                              // 000000006D18: D1CB00B7 06DE090B
	v_mul_f32_dpp v6, v27, v43 row_newbcast:0 row_mask:0xf bank_mask:0xf// 000000006D20: 0A0C56FA FF01501B
	v_mfma_f32_16x16x32_fp8_fp8 v[8:11], a[176:177], a[104:105], 0// 000000006D28: D3F30008 1A02D1B0
	v_mfma_f32_16x16x32_fp8_fp8 v[8:11], a[178:179], a[106:107], v[8:11]// 000000006D30: D3F30008 1C22D5B2
	v_mfma_f32_16x16x32_fp8_fp8 v[8:11], a[180:181], a[108:109], v[8:11]// 000000006D38: D3F30008 1C22D9B4
	v_mfma_f32_16x16x32_fp8_fp8 v[8:11], a[182:183], a[110:111], v[8:11]// 000000006D40: D3F30008 1C22DDB6
	ds_read_b128 a[48:51], v2 offset:23680                     // 000000006D48: DBFE5C80 30000002
	ds_read_b128 a[52:55], v2 offset:23744                     // 000000006D50: DBFE5CC0 34000002
	v_fma_f32 v220, v12, v4, v220                              // 000000006D58: D1CB00DC 0772090C
	v_fma_f32 v221, v13, v4, v221                              // 000000006D60: D1CB00DD 0776090D
	v_fma_f32 v222, v14, v4, v222                              // 000000006D68: D1CB00DE 077A090E
	v_fma_f32 v223, v15, v4, v223                              // 000000006D70: D1CB00DF 077E090F
	v_mfma_f32_16x16x32_fp8_fp8 v[12:15], a[184:185], a[104:105], 0// 000000006D78: D3F3000C 1A02D1B8
	v_mfma_f32_16x16x32_fp8_fp8 v[12:15], a[186:187], a[106:107], v[12:15]// 000000006D80: D3F3000C 1C32D5BA
	v_mfma_f32_16x16x32_fp8_fp8 v[12:15], a[188:189], a[108:109], v[12:15]// 000000006D88: D3F3000C 1C32D9BC
	v_mfma_f32_16x16x32_fp8_fp8 v[12:15], a[190:191], a[110:111], v[12:15]// 000000006D90: D3F3000C 1C32DDBE
	ds_read_b128 a[56:59], v2 offset:24192                     // 000000006D98: DBFE5E80 38000002
	ds_read_b128 a[60:63], v2 offset:24256                     // 000000006DA0: DBFE5EC0 3C000002
	v_fma_f32 v184, v8, v6, v184                               // 000000006DA8: D1CB00B8 06E20D08
	v_fma_f32 v185, v9, v6, v185                               // 000000006DB0: D1CB00B9 06E60D09
	v_fma_f32 v186, v10, v6, v186                              // 000000006DB8: D1CB00BA 06EA0D0A
	v_fma_f32 v187, v11, v6, v187                              // 000000006DC0: D1CB00BB 06EE0D0B
	v_mul_f32_dpp v4, v27, v44 row_newbcast:0 row_mask:0xf bank_mask:0xf// 000000006DC8: 0A0858FA FF01501B
	v_mfma_f32_16x16x32_fp8_fp8 v[8:11], a[176:177], a[112:113], 0// 000000006DD0: D3F30008 1A02E1B0
	v_mfma_f32_16x16x32_fp8_fp8 v[8:11], a[178:179], a[114:115], v[8:11]// 000000006DD8: D3F30008 1C22E5B2
	v_mfma_f32_16x16x32_fp8_fp8 v[8:11], a[180:181], a[116:117], v[8:11]// 000000006DE0: D3F30008 1C22E9B4
	v_mfma_f32_16x16x32_fp8_fp8 v[8:11], a[182:183], a[118:119], v[8:11]// 000000006DE8: D3F30008 1C22EDB6
	ds_read_b128 a[64:67], v2 offset:24704                     // 000000006DF0: DBFE6080 40000002
	ds_read_b128 a[68:71], v2 offset:24768                     // 000000006DF8: DBFE60C0 44000002
	v_fma_f32 v224, v12, v6, v224                              // 000000006E00: D1CB00E0 07820D0C
	v_fma_f32 v225, v13, v6, v225                              // 000000006E08: D1CB00E1 07860D0D
	v_fma_f32 v226, v14, v6, v226                              // 000000006E10: D1CB00E2 078A0D0E
	v_fma_f32 v227, v15, v6, v227                              // 000000006E18: D1CB00E3 078E0D0F
	v_mfma_f32_16x16x32_fp8_fp8 v[12:15], a[184:185], a[112:113], 0// 000000006E20: D3F3000C 1A02E1B8
	v_mfma_f32_16x16x32_fp8_fp8 v[12:15], a[186:187], a[114:115], v[12:15]// 000000006E28: D3F3000C 1C32E5BA
	v_mfma_f32_16x16x32_fp8_fp8 v[12:15], a[188:189], a[116:117], v[12:15]// 000000006E30: D3F3000C 1C32E9BC
	v_mfma_f32_16x16x32_fp8_fp8 v[12:15], a[190:191], a[118:119], v[12:15]// 000000006E38: D3F3000C 1C32EDBE
	ds_read_b128 a[72:75], v2 offset:25216                     // 000000006E40: DBFE6280 48000002
	ds_read_b128 a[76:79], v2 offset:25280                     // 000000006E48: DBFE62C0 4C000002
	v_fma_f32 v188, v8, v4, v188                               // 000000006E50: D1CB00BC 06F20908
	v_fma_f32 v189, v9, v4, v189                               // 000000006E58: D1CB00BD 06F60909
	v_fma_f32 v190, v10, v4, v190                              // 000000006E60: D1CB00BE 06FA090A
	v_fma_f32 v191, v11, v4, v191                              // 000000006E68: D1CB00BF 06FE090B
	v_mul_f32_dpp v6, v27, v45 row_newbcast:0 row_mask:0xf bank_mask:0xf// 000000006E70: 0A0C5AFA FF01501B
	v_mfma_f32_16x16x32_fp8_fp8 v[8:11], a[176:177], a[120:121], 0// 000000006E78: D3F30008 1A02F1B0
	v_mfma_f32_16x16x32_fp8_fp8 v[8:11], a[178:179], a[122:123], v[8:11]// 000000006E80: D3F30008 1C22F5B2
	v_mfma_f32_16x16x32_fp8_fp8 v[8:11], a[180:181], a[124:125], v[8:11]// 000000006E88: D3F30008 1C22F9B4
	v_mfma_f32_16x16x32_fp8_fp8 v[8:11], a[182:183], a[126:127], v[8:11]// 000000006E90: D3F30008 1C22FDB6
	v_fma_f32 v228, v12, v4, v228                              // 000000006E98: D1CB00E4 0792090C
	v_fma_f32 v229, v13, v4, v229                              // 000000006EA0: D1CB00E5 0796090D
	v_fma_f32 v230, v14, v4, v230                              // 000000006EA8: D1CB00E6 079A090E
	v_fma_f32 v231, v15, v4, v231                              // 000000006EB0: D1CB00E7 079E090F
	v_mfma_f32_16x16x32_fp8_fp8 v[12:15], a[184:185], a[120:121], 0// 000000006EB8: D3F3000C 1A02F1B8
	v_mfma_f32_16x16x32_fp8_fp8 v[12:15], a[186:187], a[122:123], v[12:15]// 000000006EC0: D3F3000C 1C32F5BA
	v_mfma_f32_16x16x32_fp8_fp8 v[12:15], a[188:189], a[124:125], v[12:15]// 000000006EC8: D3F3000C 1C32F9BC
	v_mfma_f32_16x16x32_fp8_fp8 v[12:15], a[190:191], a[126:127], v[12:15]// 000000006ED0: D3F3000C 1C32FDBE
	v_fma_f32 v192, v8, v6, v192                               // 000000006ED8: D1CB00C0 07020D08
	v_fma_f32 v193, v9, v6, v193                               // 000000006EE0: D1CB00C1 07060D09
	v_fma_f32 v194, v10, v6, v194                              // 000000006EE8: D1CB00C2 070A0D0A
	v_fma_f32 v195, v11, v6, v195                              // 000000006EF0: D1CB00C3 070E0D0B
	v_mul_f32_dpp v4, v27, v46 row_newbcast:0 row_mask:0xf bank_mask:0xf// 000000006EF8: 0A085CFA FF01501B
	v_mfma_f32_16x16x32_fp8_fp8 v[8:11], a[176:177], a[128:129], 0// 000000006F00: D3F30008 1A0301B0
	v_mfma_f32_16x16x32_fp8_fp8 v[8:11], a[178:179], a[130:131], v[8:11]// 000000006F08: D3F30008 1C2305B2
	v_mfma_f32_16x16x32_fp8_fp8 v[8:11], a[180:181], a[132:133], v[8:11]// 000000006F10: D3F30008 1C2309B4
	v_mfma_f32_16x16x32_fp8_fp8 v[8:11], a[182:183], a[134:135], v[8:11]// 000000006F18: D3F30008 1C230DB6
	v_fma_f32 v232, v12, v6, v232                              // 000000006F20: D1CB00E8 07A20D0C
	v_fma_f32 v233, v13, v6, v233                              // 000000006F28: D1CB00E9 07A60D0D
	v_fma_f32 v234, v14, v6, v234                              // 000000006F30: D1CB00EA 07AA0D0E
	v_fma_f32 v235, v15, v6, v235                              // 000000006F38: D1CB00EB 07AE0D0F
	v_mfma_f32_16x16x32_fp8_fp8 v[12:15], a[184:185], a[128:129], 0// 000000006F40: D3F3000C 1A0301B8
	v_mfma_f32_16x16x32_fp8_fp8 v[12:15], a[186:187], a[130:131], v[12:15]// 000000006F48: D3F3000C 1C3305BA
	v_mfma_f32_16x16x32_fp8_fp8 v[12:15], a[188:189], a[132:133], v[12:15]// 000000006F50: D3F3000C 1C3309BC
	v_mfma_f32_16x16x32_fp8_fp8 v[12:15], a[190:191], a[134:135], v[12:15]// 000000006F58: D3F3000C 1C330DBE
	v_fma_f32 v196, v8, v4, v196                               // 000000006F60: D1CB00C4 07120908
	v_fma_f32 v197, v9, v4, v197                               // 000000006F68: D1CB00C5 07160909
	v_fma_f32 v198, v10, v4, v198                              // 000000006F70: D1CB00C6 071A090A
	v_fma_f32 v199, v11, v4, v199                              // 000000006F78: D1CB00C7 071E090B
	v_mul_f32_dpp v6, v27, v47 row_newbcast:0 row_mask:0xf bank_mask:0xf// 000000006F80: 0A0C5EFA FF01501B
	v_mfma_f32_16x16x32_fp8_fp8 v[8:11], a[176:177], a[136:137], 0// 000000006F88: D3F30008 1A0311B0
	v_mfma_f32_16x16x32_fp8_fp8 v[8:11], a[178:179], a[138:139], v[8:11]// 000000006F90: D3F30008 1C2315B2
	v_mfma_f32_16x16x32_fp8_fp8 v[8:11], a[180:181], a[140:141], v[8:11]// 000000006F98: D3F30008 1C2319B4
	v_mfma_f32_16x16x32_fp8_fp8 v[8:11], a[182:183], a[142:143], v[8:11]// 000000006FA0: D3F30008 1C231DB6
	v_fma_f32 v236, v12, v4, v236                              // 000000006FA8: D1CB00EC 07B2090C
	v_fma_f32 v237, v13, v4, v237                              // 000000006FB0: D1CB00ED 07B6090D
	v_fma_f32 v238, v14, v4, v238                              // 000000006FB8: D1CB00EE 07BA090E
	v_fma_f32 v239, v15, v4, v239                              // 000000006FC0: D1CB00EF 07BE090F
	v_mfma_f32_16x16x32_fp8_fp8 v[12:15], a[184:185], a[136:137], 0// 000000006FC8: D3F3000C 1A0311B8
	v_mfma_f32_16x16x32_fp8_fp8 v[12:15], a[186:187], a[138:139], v[12:15]// 000000006FD0: D3F3000C 1C3315BA
	v_mfma_f32_16x16x32_fp8_fp8 v[12:15], a[188:189], a[140:141], v[12:15]// 000000006FD8: D3F3000C 1C3319BC
	v_mfma_f32_16x16x32_fp8_fp8 v[12:15], a[190:191], a[142:143], v[12:15]// 000000006FE0: D3F3000C 1C331DBE
	v_fma_f32 v200, v8, v6, v200                               // 000000006FE8: D1CB00C8 07220D08
	v_fma_f32 v201, v9, v6, v201                               // 000000006FF0: D1CB00C9 07260D09
	v_fma_f32 v202, v10, v6, v202                              // 000000006FF8: D1CB00CA 072A0D0A
	v_fma_f32 v203, v11, v6, v203                              // 000000007000: D1CB00CB 072E0D0B
	v_mul_f32_dpp v4, v27, v48 row_newbcast:0 row_mask:0xf bank_mask:0xf// 000000007008: 0A0860FA FF01501B
	v_mfma_f32_16x16x32_fp8_fp8 v[8:11], a[176:177], a[144:145], 0// 000000007010: D3F30008 1A0321B0
	v_mfma_f32_16x16x32_fp8_fp8 v[8:11], a[178:179], a[146:147], v[8:11]// 000000007018: D3F30008 1C2325B2
	v_mfma_f32_16x16x32_fp8_fp8 v[8:11], a[180:181], a[148:149], v[8:11]// 000000007020: D3F30008 1C2329B4
	v_mfma_f32_16x16x32_fp8_fp8 v[8:11], a[182:183], a[150:151], v[8:11]// 000000007028: D3F30008 1C232DB6
	v_fma_f32 v240, v12, v6, v240                              // 000000007030: D1CB00F0 07C20D0C
	v_fma_f32 v241, v13, v6, v241                              // 000000007038: D1CB00F1 07C60D0D
	v_fma_f32 v242, v14, v6, v242                              // 000000007040: D1CB00F2 07CA0D0E
	v_fma_f32 v243, v15, v6, v243                              // 000000007048: D1CB00F3 07CE0D0F
	v_mfma_f32_16x16x32_fp8_fp8 v[12:15], a[184:185], a[144:145], 0// 000000007050: D3F3000C 1A0321B8
	v_mfma_f32_16x16x32_fp8_fp8 v[12:15], a[186:187], a[146:147], v[12:15]// 000000007058: D3F3000C 1C3325BA
	v_mfma_f32_16x16x32_fp8_fp8 v[12:15], a[188:189], a[148:149], v[12:15]// 000000007060: D3F3000C 1C3329BC
	v_mfma_f32_16x16x32_fp8_fp8 v[12:15], a[190:191], a[150:151], v[12:15]// 000000007068: D3F3000C 1C332DBE
	v_fma_f32 v204, v8, v4, v204                               // 000000007070: D1CB00CC 07320908
	v_fma_f32 v205, v9, v4, v205                               // 000000007078: D1CB00CD 07360909
	v_fma_f32 v206, v10, v4, v206                              // 000000007080: D1CB00CE 073A090A
	v_fma_f32 v207, v11, v4, v207                              // 000000007088: D1CB00CF 073E090B
	v_mul_f32_dpp v6, v27, v49 row_newbcast:0 row_mask:0xf bank_mask:0xf// 000000007090: 0A0C62FA FF01501B
	v_mfma_f32_16x16x32_fp8_fp8 v[8:11], a[176:177], a[152:153], 0// 000000007098: D3F30008 1A0331B0
	s_add_u32 s60, 0x180, s80                                  // 0000000070A0: 803C50FF 00000180
	s_cmp_lt_u32 s60, s81                                      // 0000000070A8: BF0A513C
	s_cselect_b32 s57, s57, 0                                  // 0000000070AC: 85398039
	s_cselect_b32 s3, s3, 0                                    // 0000000070B0: 85038003
	v_mfma_f32_16x16x32_fp8_fp8 v[8:11], a[178:179], a[154:155], v[8:11]// 0000000070B4: D3F30008 1C2335B2
	s_add_u32 s60, 0x100, s80                                  // 0000000070BC: 803C50FF 00000100
	s_cmp_lt_u32 s60, s81                                      // 0000000070C4: BF0A513C
	s_cselect_b32 s58, s58, 0                                  // 0000000070C8: 853A803A
	v_mfma_f32_16x16x32_fp8_fp8 v[8:11], a[180:181], a[156:157], v[8:11]// 0000000070CC: D3F30008 1C2339B4
	s_add_u32 s60, 0x100, s80                                  // 0000000070D4: 803C50FF 00000100
	s_cmp_lt_u32 s60, s81                                      // 0000000070DC: BF0A513C
	s_cselect_b32 s83, s83, 0                                  // 0000000070E0: 85538053
	s_cselect_b32 s4, s4, 0                                    // 0000000070E4: 85048004
	v_mfma_f32_16x16x32_fp8_fp8 v[8:11], a[182:183], a[158:159], v[8:11]// 0000000070E8: D3F30008 1C233DB6
	s_add_u32 s24, s58, s24                                    // 0000000070F0: 8018183A
	s_addc_u32 s25, 0, s25                                     // 0000000070F4: 82191980
	v_fma_f32 v244, v12, v4, v244                              // 0000000070F8: D1CB00F4 07D2090C
	v_fma_f32 v245, v13, v4, v245                              // 000000007100: D1CB00F5 07D6090D
	v_fma_f32 v246, v14, v4, v246                              // 000000007108: D1CB00F6 07DA090E
	v_fma_f32 v247, v15, v4, v247                              // 000000007110: D1CB00F7 07DE090F
	v_mfma_f32_16x16x32_fp8_fp8 v[12:15], a[184:185], a[152:153], 0// 000000007118: D3F3000C 1A0331B8
	s_add_u32 s20, s57, s20                                    // 000000007120: 80141439
	s_addc_u32 s21, 0, s21                                     // 000000007124: 82151580
	s_add_u32 s28, s3, s28                                     // 000000007128: 801C1C03
	s_addc_u32 s29, 0, s29                                     // 00000000712C: 821D1D80
	v_mfma_f32_16x16x32_fp8_fp8 v[12:15], a[186:187], a[154:155], v[12:15]// 000000007130: D3F3000C 1C3335BA
	s_add_u32 s84, s83, s84                                    // 000000007138: 80545453
	s_addc_u32 s85, 0, s85                                     // 00000000713C: 82555580
	v_mfma_f32_16x16x32_fp8_fp8 v[12:15], a[188:189], a[156:157], v[12:15]// 000000007140: D3F3000C 1C3339BC
	s_add_u32 s32, s4, s32                                     // 000000007148: 80202004
	s_addc_u32 s33, 0, s33                                     // 00000000714C: 82212180
	v_mfma_f32_16x16x32_fp8_fp8 v[12:15], a[190:191], a[158:159], v[12:15]// 000000007150: D3F3000C 1C333DBE
	v_fma_f32 v208, v8, v6, v208                               // 000000007158: D1CB00D0 07420D08
	v_fma_f32 v209, v9, v6, v209                               // 000000007160: D1CB00D1 07460D09
	v_fma_f32 v210, v10, v6, v210                              // 000000007168: D1CB00D2 074A0D0A
	v_fma_f32 v211, v11, v6, v211                              // 000000007170: D1CB00D3 074E0D0B
	v_fma_f32 v248, v12, v6, v248                              // 000000007178: D1CB00F8 07E20D0C
	v_fma_f32 v249, v13, v6, v249                              // 000000007180: D1CB00F9 07E60D0D
	v_fma_f32 v250, v14, v6, v250                              // 000000007188: D1CB00FA 07EA0D0E
	v_fma_f32 v251, v15, v6, v251                              // 000000007190: D1CB00FB 07EE0D0F
	s_addk_i32 s80, 0x80                                       // 000000007198: B7500080
	s_cmp_lt_i32 s80, s81                                      // 00000000719C: BF045150
	s_cbranch_scc0 label_18B4                                  // 0000000071A0: BF8406CB
	s_waitcnt vmcnt(35) lgkmcnt(0)                             // 0000000071A4: BF8C8073
	v_mul_f32_dpp v4, v25, v50 row_newbcast:0 row_mask:0xf bank_mask:0xf// 0000000071A8: 0A0864FA FF015019
	v_mfma_f32_16x16x32_fp8_fp8 v[8:11], a[192:193], a[0:1], 0 // 0000000071B0: D3F30008 1A0201C0
	buffer_load_dword v26, v22, s[32:35], 0 offen              // 0000000071B8: E0501000 80081A16
	v_mfma_f32_16x16x32_fp8_fp8 v[8:11], a[194:195], a[2:3], v[8:11]// 0000000071C0: D3F30008 1C2205C2
	buffer_load_dwordx4 a[176:179], v90, s[24:27], 0 offen     // 0000000071C8: E05C1000 8086B05A
	v_mfma_f32_16x16x32_fp8_fp8 v[8:11], a[196:197], a[4:5], v[8:11]// 0000000071D0: D3F30008 1C2209C4
	v_mfma_f32_16x16x32_fp8_fp8 v[8:11], a[198:199], a[6:7], v[8:11]// 0000000071D8: D3F30008 1C220DC6
	v_mfma_f32_16x16x32_fp8_fp8 v[12:15], a[200:201], a[0:1], 0// 0000000071E0: D3F3000C 1A0201C8
	v_mfma_f32_16x16x32_fp8_fp8 v[12:15], a[202:203], a[2:3], v[12:15]// 0000000071E8: D3F3000C 1C3205CA
	buffer_load_dwordx4 a[180:183], v90, s[24:27], 0 offen offset:1024// 0000000071F0: E05C1400 8086B45A
	v_mfma_f32_16x16x32_fp8_fp8 v[12:15], a[204:205], a[4:5], v[12:15]// 0000000071F8: D3F3000C 1C3209CC
	v_mfma_f32_16x16x32_fp8_fp8 v[12:15], a[206:207], a[6:7], v[12:15]// 000000007200: D3F3000C 1C320DCE
	v_fma_f32 v92, v8, v4, v92                                 // 000000007208: D1CB005C 05720908
	v_fma_f32 v93, v9, v4, v93                                 // 000000007210: D1CB005D 05760909
	v_fma_f32 v94, v10, v4, v94                                // 000000007218: D1CB005E 057A090A
	v_fma_f32 v95, v11, v4, v95                                // 000000007220: D1CB005F 057E090B
	v_mul_f32_dpp v6, v25, v51 row_newbcast:0 row_mask:0xf bank_mask:0xf// 000000007228: 0A0C66FA FF015019
	v_mfma_f32_16x16x32_fp8_fp8 v[8:11], a[192:193], a[8:9], 0 // 000000007230: D3F30008 1A0211C0
	v_mfma_f32_16x16x32_fp8_fp8 v[8:11], a[194:195], a[10:11], v[8:11]// 000000007238: D3F30008 1C2215C2
	buffer_load_dwordx4 a[184:187], v91, s[24:27], 0 offen     // 000000007240: E05C1000 8086B85B
	v_mfma_f32_16x16x32_fp8_fp8 v[8:11], a[196:197], a[12:13], v[8:11]// 000000007248: D3F30008 1C2219C4
	v_mfma_f32_16x16x32_fp8_fp8 v[8:11], a[198:199], a[14:15], v[8:11]// 000000007250: D3F30008 1C221DC6
	v_fma_f32 v132, v12, v4, v132                              // 000000007258: D1CB0084 0612090C
	v_fma_f32 v133, v13, v4, v133                              // 000000007260: D1CB0085 0616090D
	v_fma_f32 v134, v14, v4, v134                              // 000000007268: D1CB0086 061A090E
	v_fma_f32 v135, v15, v4, v135                              // 000000007270: D1CB0087 061E090F
	v_mfma_f32_16x16x32_fp8_fp8 v[12:15], a[200:201], a[8:9], 0// 000000007278: D3F3000C 1A0211C8
	v_mfma_f32_16x16x32_fp8_fp8 v[12:15], a[202:203], a[10:11], v[12:15]// 000000007280: D3F3000C 1C3215CA
	buffer_load_dwordx4 a[188:191], v91, s[24:27], 0 offen offset:1024// 000000007288: E05C1400 8086BC5B
	buffer_load_dword v70, s[20:23], 0 offen lds               // 000000007290: E0511000 80050046
	s_add_u32 m0, 0x100, s48                                   // 000000007298: 807C30FF 00000100
	v_mfma_f32_16x16x32_fp8_fp8 v[12:15], a[204:205], a[12:13], v[12:15]// 0000000072A0: D3F3000C 1C3219CC
	v_mfma_f32_16x16x32_fp8_fp8 v[12:15], a[206:207], a[14:15], v[12:15]// 0000000072A8: D3F3000C 1C321DCE
	buffer_load_dword v71, s[20:23], 0 offen lds               // 0000000072B0: E0511000 80050047
	s_add_u32 m0, 0x200, s48                                   // 0000000072B8: 807C30FF 00000200
	v_fma_f32 v96, v8, v6, v96                                 // 0000000072C0: D1CB0060 05820D08
	v_fma_f32 v97, v9, v6, v97                                 // 0000000072C8: D1CB0061 05860D09
	v_fma_f32 v98, v10, v6, v98                                // 0000000072D0: D1CB0062 058A0D0A
	v_fma_f32 v99, v11, v6, v99                                // 0000000072D8: D1CB0063 058E0D0B
	v_mul_f32_dpp v4, v25, v52 row_newbcast:0 row_mask:0xf bank_mask:0xf// 0000000072E0: 0A0868FA FF015019
	v_mfma_f32_16x16x32_fp8_fp8 v[8:11], a[192:193], a[16:17], 0// 0000000072E8: D3F30008 1A0221C0
	v_mfma_f32_16x16x32_fp8_fp8 v[8:11], a[194:195], a[18:19], v[8:11]// 0000000072F0: D3F30008 1C2225C2
	buffer_load_dword v72, s[20:23], 0 offen lds               // 0000000072F8: E0511000 80050048
	s_add_u32 m0, 0x300, s48                                   // 000000007300: 807C30FF 00000300
	v_mfma_f32_16x16x32_fp8_fp8 v[8:11], a[196:197], a[20:21], v[8:11]// 000000007308: D3F30008 1C2229C4
	v_mfma_f32_16x16x32_fp8_fp8 v[8:11], a[198:199], a[22:23], v[8:11]// 000000007310: D3F30008 1C222DC6
	buffer_load_dword v73, s[20:23], 0 offen lds               // 000000007318: E0511000 80050049
	s_add_u32 m0, 0x400, s48                                   // 000000007320: 807C30FF 00000400
	v_fma_f32 v136, v12, v6, v136                              // 000000007328: D1CB0088 06220D0C
	v_fma_f32 v137, v13, v6, v137                              // 000000007330: D1CB0089 06260D0D
	v_fma_f32 v138, v14, v6, v138                              // 000000007338: D1CB008A 062A0D0E
	v_fma_f32 v139, v15, v6, v139                              // 000000007340: D1CB008B 062E0D0F
	v_mfma_f32_16x16x32_fp8_fp8 v[12:15], a[200:201], a[16:17], 0// 000000007348: D3F3000C 1A0221C8
	v_mfma_f32_16x16x32_fp8_fp8 v[12:15], a[202:203], a[18:19], v[12:15]// 000000007350: D3F3000C 1C3225CA
	buffer_load_dword v74, s[20:23], 0 offen lds               // 000000007358: E0511000 8005004A
	s_add_u32 m0, 0x500, s48                                   // 000000007360: 807C30FF 00000500
	v_mfma_f32_16x16x32_fp8_fp8 v[12:15], a[204:205], a[20:21], v[12:15]// 000000007368: D3F3000C 1C3229CC
	v_mfma_f32_16x16x32_fp8_fp8 v[12:15], a[206:207], a[22:23], v[12:15]// 000000007370: D3F3000C 1C322DCE
	buffer_load_dword v75, s[20:23], 0 offen lds               // 000000007378: E0511000 8005004B
	s_add_u32 m0, 0x600, s48                                   // 000000007380: 807C30FF 00000600
	v_fma_f32 v100, v8, v4, v100                               // 000000007388: D1CB0064 05920908
	v_fma_f32 v101, v9, v4, v101                               // 000000007390: D1CB0065 05960909
	v_fma_f32 v102, v10, v4, v102                              // 000000007398: D1CB0066 059A090A
	v_fma_f32 v103, v11, v4, v103                              // 0000000073A0: D1CB0067 059E090B
	v_mul_f32_dpp v6, v25, v53 row_newbcast:0 row_mask:0xf bank_mask:0xf// 0000000073A8: 0A0C6AFA FF015019
	v_mfma_f32_16x16x32_fp8_fp8 v[8:11], a[192:193], a[24:25], 0// 0000000073B0: D3F30008 1A0231C0
	v_mfma_f32_16x16x32_fp8_fp8 v[8:11], a[194:195], a[26:27], v[8:11]// 0000000073B8: D3F30008 1C2235C2
	buffer_load_dword v76, s[20:23], 0 offen lds               // 0000000073C0: E0511000 8005004C
	s_add_u32 m0, 0x700, s48                                   // 0000000073C8: 807C30FF 00000700
	v_mfma_f32_16x16x32_fp8_fp8 v[8:11], a[196:197], a[28:29], v[8:11]// 0000000073D0: D3F30008 1C2239C4
	v_mfma_f32_16x16x32_fp8_fp8 v[8:11], a[198:199], a[30:31], v[8:11]// 0000000073D8: D3F30008 1C223DC6
	buffer_load_dword v77, s[20:23], 0 offen lds               // 0000000073E0: E0511000 8005004D
	s_add_u32 m0, 0x800, s48                                   // 0000000073E8: 807C30FF 00000800
	v_fma_f32 v140, v12, v4, v140                              // 0000000073F0: D1CB008C 0632090C
	v_fma_f32 v141, v13, v4, v141                              // 0000000073F8: D1CB008D 0636090D
	v_fma_f32 v142, v14, v4, v142                              // 000000007400: D1CB008E 063A090E
	v_fma_f32 v143, v15, v4, v143                              // 000000007408: D1CB008F 063E090F
	v_mfma_f32_16x16x32_fp8_fp8 v[12:15], a[200:201], a[24:25], 0// 000000007410: D3F3000C 1A0231C8
	v_mfma_f32_16x16x32_fp8_fp8 v[12:15], a[202:203], a[26:27], v[12:15]// 000000007418: D3F3000C 1C3235CA
	buffer_load_dword v78, s[20:23], 0 offen lds               // 000000007420: E0511000 8005004E
	s_add_u32 m0, 0x900, s48                                   // 000000007428: 807C30FF 00000900
	v_mfma_f32_16x16x32_fp8_fp8 v[12:15], a[204:205], a[28:29], v[12:15]// 000000007430: D3F3000C 1C3239CC
	v_mfma_f32_16x16x32_fp8_fp8 v[12:15], a[206:207], a[30:31], v[12:15]// 000000007438: D3F3000C 1C323DCE
	buffer_load_dword v79, s[20:23], 0 offen lds               // 000000007440: E0511000 8005004F
	s_add_u32 m0, 0xa00, s48                                   // 000000007448: 807C30FF 00000A00
	v_fma_f32 v104, v8, v6, v104                               // 000000007450: D1CB0068 05A20D08
	v_fma_f32 v105, v9, v6, v105                               // 000000007458: D1CB0069 05A60D09
	v_fma_f32 v106, v10, v6, v106                              // 000000007460: D1CB006A 05AA0D0A
	v_fma_f32 v107, v11, v6, v107                              // 000000007468: D1CB006B 05AE0D0B
	v_mul_f32_dpp v4, v25, v54 row_newbcast:0 row_mask:0xf bank_mask:0xf// 000000007470: 0A086CFA FF015019
	v_mfma_f32_16x16x32_fp8_fp8 v[8:11], a[192:193], a[32:33], 0// 000000007478: D3F30008 1A0241C0
	v_mfma_f32_16x16x32_fp8_fp8 v[8:11], a[194:195], a[34:35], v[8:11]// 000000007480: D3F30008 1C2245C2
	buffer_load_dword v80, s[20:23], 0 offen lds               // 000000007488: E0511000 80050050
	s_add_u32 m0, 0xb00, s48                                   // 000000007490: 807C30FF 00000B00
	v_mfma_f32_16x16x32_fp8_fp8 v[8:11], a[196:197], a[36:37], v[8:11]// 000000007498: D3F30008 1C2249C4
	v_mfma_f32_16x16x32_fp8_fp8 v[8:11], a[198:199], a[38:39], v[8:11]// 0000000074A0: D3F30008 1C224DC6
	buffer_load_dword v81, s[20:23], 0 offen lds               // 0000000074A8: E0511000 80050051
	s_add_u32 m0, 0xc00, s48                                   // 0000000074B0: 807C30FF 00000C00
	v_fma_f32 v144, v12, v6, v144                              // 0000000074B8: D1CB0090 06420D0C
	v_fma_f32 v145, v13, v6, v145                              // 0000000074C0: D1CB0091 06460D0D
	v_fma_f32 v146, v14, v6, v146                              // 0000000074C8: D1CB0092 064A0D0E
	v_fma_f32 v147, v15, v6, v147                              // 0000000074D0: D1CB0093 064E0D0F
	v_mfma_f32_16x16x32_fp8_fp8 v[12:15], a[200:201], a[32:33], 0// 0000000074D8: D3F3000C 1A0241C8
	v_mfma_f32_16x16x32_fp8_fp8 v[12:15], a[202:203], a[34:35], v[12:15]// 0000000074E0: D3F3000C 1C3245CA
	buffer_load_dword v82, s[20:23], 0 offen lds               // 0000000074E8: E0511000 80050052
	s_add_u32 m0, 0xd00, s48                                   // 0000000074F0: 807C30FF 00000D00
	v_mfma_f32_16x16x32_fp8_fp8 v[12:15], a[204:205], a[36:37], v[12:15]// 0000000074F8: D3F3000C 1C3249CC
	v_mfma_f32_16x16x32_fp8_fp8 v[12:15], a[206:207], a[38:39], v[12:15]// 000000007500: D3F3000C 1C324DCE
	buffer_load_dword v83, s[20:23], 0 offen lds               // 000000007508: E0511000 80050053
	s_add_u32 m0, 0xe00, s48                                   // 000000007510: 807C30FF 00000E00
	v_fma_f32 v108, v8, v4, v108                               // 000000007518: D1CB006C 05B20908
	v_fma_f32 v109, v9, v4, v109                               // 000000007520: D1CB006D 05B60909
	v_fma_f32 v110, v10, v4, v110                              // 000000007528: D1CB006E 05BA090A
	v_fma_f32 v111, v11, v4, v111                              // 000000007530: D1CB006F 05BE090B
	v_mul_f32_dpp v6, v25, v55 row_newbcast:0 row_mask:0xf bank_mask:0xf// 000000007538: 0A0C6EFA FF015019
	v_mfma_f32_16x16x32_fp8_fp8 v[8:11], a[192:193], a[40:41], 0// 000000007540: D3F30008 1A0251C0
	v_mfma_f32_16x16x32_fp8_fp8 v[8:11], a[194:195], a[42:43], v[8:11]// 000000007548: D3F30008 1C2255C2
	buffer_load_dword v84, s[20:23], 0 offen lds               // 000000007550: E0511000 80050054
	s_add_u32 m0, 0xf00, s48                                   // 000000007558: 807C30FF 00000F00
	v_mfma_f32_16x16x32_fp8_fp8 v[8:11], a[196:197], a[44:45], v[8:11]// 000000007560: D3F30008 1C2259C4
	v_mfma_f32_16x16x32_fp8_fp8 v[8:11], a[198:199], a[46:47], v[8:11]// 000000007568: D3F30008 1C225DC6
	buffer_load_dword v85, s[20:23], 0 offen lds               // 000000007570: E0511000 80050055
	s_add_u32 m0, 0x1000, s48                                  // 000000007578: 807C30FF 00001000
	v_fma_f32 v148, v12, v4, v148                              // 000000007580: D1CB0094 0652090C
	v_fma_f32 v149, v13, v4, v149                              // 000000007588: D1CB0095 0656090D
	v_fma_f32 v150, v14, v4, v150                              // 000000007590: D1CB0096 065A090E
	v_fma_f32 v151, v15, v4, v151                              // 000000007598: D1CB0097 065E090F
	v_mfma_f32_16x16x32_fp8_fp8 v[12:15], a[200:201], a[40:41], 0// 0000000075A0: D3F3000C 1A0251C8
	v_mfma_f32_16x16x32_fp8_fp8 v[12:15], a[202:203], a[42:43], v[12:15]// 0000000075A8: D3F3000C 1C3255CA
	buffer_load_dword v86, s[20:23], 0 offen lds               // 0000000075B0: E0511000 80050056
	s_add_u32 m0, 0x1100, s48                                  // 0000000075B8: 807C30FF 00001100
	v_mfma_f32_16x16x32_fp8_fp8 v[12:15], a[204:205], a[44:45], v[12:15]// 0000000075C0: D3F3000C 1C3259CC
	v_mfma_f32_16x16x32_fp8_fp8 v[12:15], a[206:207], a[46:47], v[12:15]// 0000000075C8: D3F3000C 1C325DCE
	buffer_load_dword v87, s[20:23], 0 offen lds               // 0000000075D0: E0511000 80050057
	s_add_u32 m0, 0x1200, s48                                  // 0000000075D8: 807C30FF 00001200
	v_fma_f32 v112, v8, v6, v112                               // 0000000075E0: D1CB0070 05C20D08
	v_fma_f32 v113, v9, v6, v113                               // 0000000075E8: D1CB0071 05C60D09
	v_fma_f32 v114, v10, v6, v114                              // 0000000075F0: D1CB0072 05CA0D0A
	v_fma_f32 v115, v11, v6, v115                              // 0000000075F8: D1CB0073 05CE0D0B
	v_mul_f32_dpp v4, v25, v56 row_newbcast:0 row_mask:0xf bank_mask:0xf// 000000007600: 0A0870FA FF015019
	v_mfma_f32_16x16x32_fp8_fp8 v[8:11], a[192:193], a[48:49], 0// 000000007608: D3F30008 1A0261C0
	v_mfma_f32_16x16x32_fp8_fp8 v[8:11], a[194:195], a[50:51], v[8:11]// 000000007610: D3F30008 1C2265C2
	buffer_load_dword v88, s[20:23], 0 offen lds               // 000000007618: E0511000 80050058
	s_add_u32 m0, 0x1300, s48                                  // 000000007620: 807C30FF 00001300
	v_mfma_f32_16x16x32_fp8_fp8 v[8:11], a[196:197], a[52:53], v[8:11]// 000000007628: D3F30008 1C2269C4
	v_mfma_f32_16x16x32_fp8_fp8 v[8:11], a[198:199], a[54:55], v[8:11]// 000000007630: D3F30008 1C226DC6
	buffer_load_dword v89, s[20:23], 0 offen lds               // 000000007638: E0511000 80050059
	s_add_u32 m0, 0, s49                                       // 000000007640: 807C3180
	v_fma_f32 v152, v12, v6, v152                              // 000000007644: D1CB0098 06620D0C
	v_fma_f32 v153, v13, v6, v153                              // 00000000764C: D1CB0099 06660D0D
	v_fma_f32 v154, v14, v6, v154                              // 000000007654: D1CB009A 066A0D0E
	v_fma_f32 v155, v15, v6, v155                              // 00000000765C: D1CB009B 066E0D0F
	v_mfma_f32_16x16x32_fp8_fp8 v[12:15], a[200:201], a[48:49], 0// 000000007664: D3F3000C 1A0261C8
	v_mfma_f32_16x16x32_fp8_fp8 v[12:15], a[202:203], a[50:51], v[12:15]// 00000000766C: D3F3000C 1C3265CA
	buffer_load_dword v40, v30, s[28:31], 0 offen              // 000000007674: E0501000 8007281E
	v_mfma_f32_16x16x32_fp8_fp8 v[12:15], a[204:205], a[52:53], v[12:15]// 00000000767C: D3F3000C 1C3269CC
	v_mfma_f32_16x16x32_fp8_fp8 v[12:15], a[206:207], a[54:55], v[12:15]// 000000007684: D3F3000C 1C326DCE
	buffer_load_dword v41, v31, s[28:31], 0 offen              // 00000000768C: E0501000 8007291F
	v_fma_f32 v116, v8, v4, v116                               // 000000007694: D1CB0074 05D20908
	v_fma_f32 v117, v9, v4, v117                               // 00000000769C: D1CB0075 05D60909
	v_fma_f32 v118, v10, v4, v118                              // 0000000076A4: D1CB0076 05DA090A
	v_fma_f32 v119, v11, v4, v119                              // 0000000076AC: D1CB0077 05DE090B
	v_mul_f32_dpp v6, v25, v57 row_newbcast:0 row_mask:0xf bank_mask:0xf// 0000000076B4: 0A0C72FA FF015019
	v_mfma_f32_16x16x32_fp8_fp8 v[8:11], a[192:193], a[56:57], 0// 0000000076BC: D3F30008 1A0271C0
	v_mfma_f32_16x16x32_fp8_fp8 v[8:11], a[194:195], a[58:59], v[8:11]// 0000000076C4: D3F30008 1C2275C2
	buffer_load_dword v42, v32, s[28:31], 0 offen              // 0000000076CC: E0501000 80072A20
	v_mfma_f32_16x16x32_fp8_fp8 v[8:11], a[196:197], a[60:61], v[8:11]// 0000000076D4: D3F30008 1C2279C4
	v_mfma_f32_16x16x32_fp8_fp8 v[8:11], a[198:199], a[62:63], v[8:11]// 0000000076DC: D3F30008 1C227DC6
	buffer_load_dword v43, v33, s[28:31], 0 offen              // 0000000076E4: E0501000 80072B21
	v_fma_f32 v156, v12, v4, v156                              // 0000000076EC: D1CB009C 0672090C
	v_fma_f32 v157, v13, v4, v157                              // 0000000076F4: D1CB009D 0676090D
	v_fma_f32 v158, v14, v4, v158                              // 0000000076FC: D1CB009E 067A090E
	v_fma_f32 v159, v15, v4, v159                              // 000000007704: D1CB009F 067E090F
	v_mfma_f32_16x16x32_fp8_fp8 v[12:15], a[200:201], a[56:57], 0// 00000000770C: D3F3000C 1A0271C8
	v_mfma_f32_16x16x32_fp8_fp8 v[12:15], a[202:203], a[58:59], v[12:15]// 000000007714: D3F3000C 1C3275CA
	buffer_load_dword v44, v34, s[28:31], 0 offen              // 00000000771C: E0501000 80072C22
	v_mfma_f32_16x16x32_fp8_fp8 v[12:15], a[204:205], a[60:61], v[12:15]// 000000007724: D3F3000C 1C3279CC
	v_mfma_f32_16x16x32_fp8_fp8 v[12:15], a[206:207], a[62:63], v[12:15]// 00000000772C: D3F3000C 1C327DCE
	buffer_load_dword v45, v35, s[28:31], 0 offen              // 000000007734: E0501000 80072D23
	v_fma_f32 v120, v8, v6, v120                               // 00000000773C: D1CB0078 05E20D08
	v_fma_f32 v121, v9, v6, v121                               // 000000007744: D1CB0079 05E60D09
	v_fma_f32 v122, v10, v6, v122                              // 00000000774C: D1CB007A 05EA0D0A
	v_fma_f32 v123, v11, v6, v123                              // 000000007754: D1CB007B 05EE0D0B
	v_mul_f32_dpp v4, v25, v58 row_newbcast:0 row_mask:0xf bank_mask:0xf// 00000000775C: 0A0874FA FF015019
	v_mfma_f32_16x16x32_fp8_fp8 v[8:11], a[192:193], a[64:65], 0// 000000007764: D3F30008 1A0281C0
	v_mfma_f32_16x16x32_fp8_fp8 v[8:11], a[194:195], a[66:67], v[8:11]// 00000000776C: D3F30008 1C2285C2
	buffer_load_dword v46, v36, s[28:31], 0 offen              // 000000007774: E0501000 80072E24
	v_mfma_f32_16x16x32_fp8_fp8 v[8:11], a[196:197], a[68:69], v[8:11]// 00000000777C: D3F30008 1C2289C4
	v_mfma_f32_16x16x32_fp8_fp8 v[8:11], a[198:199], a[70:71], v[8:11]// 000000007784: D3F30008 1C228DC6
	buffer_load_dword v47, v37, s[28:31], 0 offen              // 00000000778C: E0501000 80072F25
	v_fma_f32 v160, v12, v6, v160                              // 000000007794: D1CB00A0 06820D0C
	v_fma_f32 v161, v13, v6, v161                              // 00000000779C: D1CB00A1 06860D0D
	v_fma_f32 v162, v14, v6, v162                              // 0000000077A4: D1CB00A2 068A0D0E
	v_fma_f32 v163, v15, v6, v163                              // 0000000077AC: D1CB00A3 068E0D0F
	v_mfma_f32_16x16x32_fp8_fp8 v[12:15], a[200:201], a[64:65], 0// 0000000077B4: D3F3000C 1A0281C8
	v_mfma_f32_16x16x32_fp8_fp8 v[12:15], a[202:203], a[66:67], v[12:15]// 0000000077BC: D3F3000C 1C3285CA
	buffer_load_dword v48, v38, s[28:31], 0 offen              // 0000000077C4: E0501000 80073026
	v_mfma_f32_16x16x32_fp8_fp8 v[12:15], a[204:205], a[68:69], v[12:15]// 0000000077CC: D3F3000C 1C3289CC
	v_mfma_f32_16x16x32_fp8_fp8 v[12:15], a[206:207], a[70:71], v[12:15]// 0000000077D4: D3F3000C 1C328DCE
	buffer_load_dword v49, v39, s[28:31], 0 offen              // 0000000077DC: E0501000 80073127
	v_fma_f32 v124, v8, v4, v124                               // 0000000077E4: D1CB007C 05F20908
	v_fma_f32 v125, v9, v4, v125                               // 0000000077EC: D1CB007D 05F60909
	v_fma_f32 v126, v10, v4, v126                              // 0000000077F4: D1CB007E 05FA090A
	v_fma_f32 v127, v11, v4, v127                              // 0000000077FC: D1CB007F 05FE090B
	v_mul_f32_dpp v6, v25, v59 row_newbcast:0 row_mask:0xf bank_mask:0xf// 000000007804: 0A0C76FA FF015019
	v_mfma_f32_16x16x32_fp8_fp8 v[8:11], a[192:193], a[72:73], 0// 00000000780C: D3F30008 1A0291C0
	v_mfma_f32_16x16x32_fp8_fp8 v[8:11], a[194:195], a[74:75], v[8:11]// 000000007814: D3F30008 1C2295C2
	v_mfma_f32_16x16x32_fp8_fp8 v[8:11], a[196:197], a[76:77], v[8:11]// 00000000781C: D3F30008 1C2299C4
	v_mfma_f32_16x16x32_fp8_fp8 v[8:11], a[198:199], a[78:79], v[8:11]// 000000007824: D3F30008 1C229DC6
	v_fma_f32 v164, v12, v4, v164                              // 00000000782C: D1CB00A4 0692090C
	v_fma_f32 v165, v13, v4, v165                              // 000000007834: D1CB00A5 0696090D
	v_fma_f32 v166, v14, v4, v166                              // 00000000783C: D1CB00A6 069A090E
	v_fma_f32 v167, v15, v4, v167                              // 000000007844: D1CB00A7 069E090F
	v_mfma_f32_16x16x32_fp8_fp8 v[12:15], a[200:201], a[72:73], 0// 00000000784C: D3F3000C 1A0291C8
	v_mfma_f32_16x16x32_fp8_fp8 v[12:15], a[202:203], a[74:75], v[12:15]// 000000007854: D3F3000C 1C3295CA
	v_mfma_f32_16x16x32_fp8_fp8 v[12:15], a[204:205], a[76:77], v[12:15]// 00000000785C: D3F3000C 1C3299CC
	v_mfma_f32_16x16x32_fp8_fp8 v[12:15], a[206:207], a[78:79], v[12:15]// 000000007864: D3F3000C 1C329DCE
	v_fma_f32 v128, v8, v6, v128                               // 00000000786C: D1CB0080 06020D08
	v_fma_f32 v129, v9, v6, v129                               // 000000007874: D1CB0081 06060D09
	v_fma_f32 v130, v10, v6, v130                              // 00000000787C: D1CB0082 060A0D0A
	v_fma_f32 v131, v11, v6, v131                              // 000000007884: D1CB0083 060E0D0B
	v_fma_f32 v168, v12, v6, v168                              // 00000000788C: D1CB00A8 06A20D0C
	v_fma_f32 v169, v13, v6, v169                              // 000000007894: D1CB00A9 06A60D0D
	v_fma_f32 v170, v14, v6, v170                              // 00000000789C: D1CB00AA 06AA0D0E
	v_fma_f32 v171, v15, v6, v171                              // 0000000078A4: D1CB00AB 06AE0D0F
	s_waitcnt vmcnt(35)                                        // 0000000078AC: BF8C8F73
	s_barrier                                                  // 0000000078B0: BF8A0000
	v_mul_f32_dpp v4, v28, v50 row_newbcast:0 row_mask:0xf bank_mask:0xf// 0000000078B4: 0A0864FA FF01501C
	v_mfma_f32_16x16x32_fp8_fp8 v[8:11], a[160:161], a[0:1], 0 // 0000000078BC: D3F30008 1A0201A0
	buffer_load_dword v29, v23, s[32:35], 0 offen              // 0000000078C4: E0501000 80081D17
	v_mfma_f32_16x16x32_fp8_fp8 v[8:11], a[162:163], a[2:3], v[8:11]// 0000000078CC: D3F30008 1C2205A2
	buffer_load_dwordx4 a[192:195], v90, s[84:87], 0 offen     // 0000000078D4: E05C1000 8095C05A
	v_mfma_f32_16x16x32_fp8_fp8 v[8:11], a[164:165], a[4:5], v[8:11]// 0000000078DC: D3F30008 1C2209A4
	v_mfma_f32_16x16x32_fp8_fp8 v[8:11], a[166:167], a[6:7], v[8:11]// 0000000078E4: D3F30008 1C220DA6
	ds_read_b128 a[80:83], v2 offset:41216                     // 0000000078EC: DBFEA100 50000002
	ds_read_b128 a[84:87], v2 offset:41280                     // 0000000078F4: DBFEA140 54000002
	v_mfma_f32_16x16x32_fp8_fp8 v[12:15], a[168:169], a[0:1], 0// 0000000078FC: D3F3000C 1A0201A8
	v_mfma_f32_16x16x32_fp8_fp8 v[12:15], a[170:171], a[2:3], v[12:15]// 000000007904: D3F3000C 1C3205AA
	buffer_load_dwordx4 a[196:199], v90, s[84:87], 0 offen offset:1024// 00000000790C: E05C1400 8095C45A
	v_mfma_f32_16x16x32_fp8_fp8 v[12:15], a[172:173], a[4:5], v[12:15]// 000000007914: D3F3000C 1C3209AC
	v_mfma_f32_16x16x32_fp8_fp8 v[12:15], a[174:175], a[6:7], v[12:15]// 00000000791C: D3F3000C 1C320DAE
	ds_read_b128 a[88:91], v2 offset:41728                     // 000000007924: DBFEA300 58000002
	ds_read_b128 a[92:95], v2 offset:41792                     // 00000000792C: DBFEA340 5C000002
	v_fma_f32 v172, v8, v4, v172                               // 000000007934: D1CB00AC 06B20908
	v_fma_f32 v173, v9, v4, v173                               // 00000000793C: D1CB00AD 06B60909
	v_fma_f32 v174, v10, v4, v174                              // 000000007944: D1CB00AE 06BA090A
	v_fma_f32 v175, v11, v4, v175                              // 00000000794C: D1CB00AF 06BE090B
	v_mul_f32_dpp v6, v28, v51 row_newbcast:0 row_mask:0xf bank_mask:0xf// 000000007954: 0A0C66FA FF01501C
	v_mfma_f32_16x16x32_fp8_fp8 v[8:11], a[160:161], a[8:9], 0 // 00000000795C: D3F30008 1A0211A0
	v_mfma_f32_16x16x32_fp8_fp8 v[8:11], a[162:163], a[10:11], v[8:11]// 000000007964: D3F30008 1C2215A2
	buffer_load_dwordx4 a[200:203], v91, s[84:87], 0 offen     // 00000000796C: E05C1000 8095C85B
	v_mfma_f32_16x16x32_fp8_fp8 v[8:11], a[164:165], a[12:13], v[8:11]// 000000007974: D3F30008 1C2219A4
	v_mfma_f32_16x16x32_fp8_fp8 v[8:11], a[166:167], a[14:15], v[8:11]// 00000000797C: D3F30008 1C221DA6
	ds_read_b128 a[96:99], v2 offset:42240                     // 000000007984: DBFEA500 60000002
	ds_read_b128 a[100:103], v2 offset:42304                   // 00000000798C: DBFEA540 64000002
	v_fma_f32 v212, v12, v4, v212                              // 000000007994: D1CB00D4 0752090C
	v_fma_f32 v213, v13, v4, v213                              // 00000000799C: D1CB00D5 0756090D
	v_fma_f32 v214, v14, v4, v214                              // 0000000079A4: D1CB00D6 075A090E
	v_fma_f32 v215, v15, v4, v215                              // 0000000079AC: D1CB00D7 075E090F
	v_mfma_f32_16x16x32_fp8_fp8 v[12:15], a[168:169], a[8:9], 0// 0000000079B4: D3F3000C 1A0211A8
	v_mfma_f32_16x16x32_fp8_fp8 v[12:15], a[170:171], a[10:11], v[12:15]// 0000000079BC: D3F3000C 1C3215AA
	buffer_load_dwordx4 a[204:207], v91, s[84:87], 0 offen offset:1024// 0000000079C4: E05C1400 8095CC5B
	v_mfma_f32_16x16x32_fp8_fp8 v[12:15], a[172:173], a[12:13], v[12:15]// 0000000079CC: D3F3000C 1C3219AC
	v_mfma_f32_16x16x32_fp8_fp8 v[12:15], a[174:175], a[14:15], v[12:15]// 0000000079D4: D3F3000C 1C321DAE
	ds_read_b128 a[104:107], v2 offset:42752                   // 0000000079DC: DBFEA700 68000002
	ds_read_b128 a[108:111], v2 offset:42816                   // 0000000079E4: DBFEA740 6C000002
	v_fma_f32 v176, v8, v6, v176                               // 0000000079EC: D1CB00B0 06C20D08
	v_fma_f32 v177, v9, v6, v177                               // 0000000079F4: D1CB00B1 06C60D09
	v_fma_f32 v178, v10, v6, v178                              // 0000000079FC: D1CB00B2 06CA0D0A
	v_fma_f32 v179, v11, v6, v179                              // 000000007A04: D1CB00B3 06CE0D0B
	v_mul_f32_dpp v4, v28, v52 row_newbcast:0 row_mask:0xf bank_mask:0xf// 000000007A0C: 0A0868FA FF01501C
	v_mfma_f32_16x16x32_fp8_fp8 v[8:11], a[160:161], a[16:17], 0// 000000007A14: D3F30008 1A0221A0
	v_mfma_f32_16x16x32_fp8_fp8 v[8:11], a[162:163], a[18:19], v[8:11]// 000000007A1C: D3F30008 1C2225A2
	v_mfma_f32_16x16x32_fp8_fp8 v[8:11], a[164:165], a[20:21], v[8:11]// 000000007A24: D3F30008 1C2229A4
	v_mfma_f32_16x16x32_fp8_fp8 v[8:11], a[166:167], a[22:23], v[8:11]// 000000007A2C: D3F30008 1C222DA6
	ds_read_b128 a[112:115], v2 offset:43264                   // 000000007A34: DBFEA900 70000002
	ds_read_b128 a[116:119], v2 offset:43328                   // 000000007A3C: DBFEA940 74000002
	v_fma_f32 v216, v12, v6, v216                              // 000000007A44: D1CB00D8 07620D0C
	v_fma_f32 v217, v13, v6, v217                              // 000000007A4C: D1CB00D9 07660D0D
	v_fma_f32 v218, v14, v6, v218                              // 000000007A54: D1CB00DA 076A0D0E
	v_fma_f32 v219, v15, v6, v219                              // 000000007A5C: D1CB00DB 076E0D0F
	v_mfma_f32_16x16x32_fp8_fp8 v[12:15], a[168:169], a[16:17], 0// 000000007A64: D3F3000C 1A0221A8
	v_mfma_f32_16x16x32_fp8_fp8 v[12:15], a[170:171], a[18:19], v[12:15]// 000000007A6C: D3F3000C 1C3225AA
	v_mfma_f32_16x16x32_fp8_fp8 v[12:15], a[172:173], a[20:21], v[12:15]// 000000007A74: D3F3000C 1C3229AC
	v_mfma_f32_16x16x32_fp8_fp8 v[12:15], a[174:175], a[22:23], v[12:15]// 000000007A7C: D3F3000C 1C322DAE
	ds_read_b128 a[120:123], v2 offset:43776                   // 000000007A84: DBFEAB00 78000002
	ds_read_b128 a[124:127], v2 offset:43840                   // 000000007A8C: DBFEAB40 7C000002
	v_fma_f32 v180, v8, v4, v180                               // 000000007A94: D1CB00B4 06D20908
	v_fma_f32 v181, v9, v4, v181                               // 000000007A9C: D1CB00B5 06D60909
	v_fma_f32 v182, v10, v4, v182                              // 000000007AA4: D1CB00B6 06DA090A
	v_fma_f32 v183, v11, v4, v183                              // 000000007AAC: D1CB00B7 06DE090B
	v_mul_f32_dpp v6, v28, v53 row_newbcast:0 row_mask:0xf bank_mask:0xf// 000000007AB4: 0A0C6AFA FF01501C
	v_mfma_f32_16x16x32_fp8_fp8 v[8:11], a[160:161], a[24:25], 0// 000000007ABC: D3F30008 1A0231A0
	v_mfma_f32_16x16x32_fp8_fp8 v[8:11], a[162:163], a[26:27], v[8:11]// 000000007AC4: D3F30008 1C2235A2
	v_mfma_f32_16x16x32_fp8_fp8 v[8:11], a[164:165], a[28:29], v[8:11]// 000000007ACC: D3F30008 1C2239A4
	v_mfma_f32_16x16x32_fp8_fp8 v[8:11], a[166:167], a[30:31], v[8:11]// 000000007AD4: D3F30008 1C223DA6
	ds_read_b128 a[128:131], v2 offset:44288                   // 000000007ADC: DBFEAD00 80000002
	ds_read_b128 a[132:135], v2 offset:44352                   // 000000007AE4: DBFEAD40 84000002
	v_fma_f32 v220, v12, v4, v220                              // 000000007AEC: D1CB00DC 0772090C
	v_fma_f32 v221, v13, v4, v221                              // 000000007AF4: D1CB00DD 0776090D
	v_fma_f32 v222, v14, v4, v222                              // 000000007AFC: D1CB00DE 077A090E
	v_fma_f32 v223, v15, v4, v223                              // 000000007B04: D1CB00DF 077E090F
	v_mfma_f32_16x16x32_fp8_fp8 v[12:15], a[168:169], a[24:25], 0// 000000007B0C: D3F3000C 1A0231A8
	v_mfma_f32_16x16x32_fp8_fp8 v[12:15], a[170:171], a[26:27], v[12:15]// 000000007B14: D3F3000C 1C3235AA
	v_mfma_f32_16x16x32_fp8_fp8 v[12:15], a[172:173], a[28:29], v[12:15]// 000000007B1C: D3F3000C 1C3239AC
	v_mfma_f32_16x16x32_fp8_fp8 v[12:15], a[174:175], a[30:31], v[12:15]// 000000007B24: D3F3000C 1C323DAE
	ds_read_b128 a[136:139], v2 offset:44800                   // 000000007B2C: DBFEAF00 88000002
	ds_read_b128 a[140:143], v2 offset:44864                   // 000000007B34: DBFEAF40 8C000002
	v_fma_f32 v184, v8, v6, v184                               // 000000007B3C: D1CB00B8 06E20D08
	v_fma_f32 v185, v9, v6, v185                               // 000000007B44: D1CB00B9 06E60D09
	v_fma_f32 v186, v10, v6, v186                              // 000000007B4C: D1CB00BA 06EA0D0A
	v_fma_f32 v187, v11, v6, v187                              // 000000007B54: D1CB00BB 06EE0D0B
	v_mul_f32_dpp v4, v28, v54 row_newbcast:0 row_mask:0xf bank_mask:0xf// 000000007B5C: 0A086CFA FF01501C
	v_mfma_f32_16x16x32_fp8_fp8 v[8:11], a[160:161], a[32:33], 0// 000000007B64: D3F30008 1A0241A0
	v_mfma_f32_16x16x32_fp8_fp8 v[8:11], a[162:163], a[34:35], v[8:11]// 000000007B6C: D3F30008 1C2245A2
	v_mfma_f32_16x16x32_fp8_fp8 v[8:11], a[164:165], a[36:37], v[8:11]// 000000007B74: D3F30008 1C2249A4
	v_mfma_f32_16x16x32_fp8_fp8 v[8:11], a[166:167], a[38:39], v[8:11]// 000000007B7C: D3F30008 1C224DA6
	ds_read_b128 a[144:147], v2 offset:45312                   // 000000007B84: DBFEB100 90000002
	ds_read_b128 a[148:151], v2 offset:45376                   // 000000007B8C: DBFEB140 94000002
	v_fma_f32 v224, v12, v6, v224                              // 000000007B94: D1CB00E0 07820D0C
	v_fma_f32 v225, v13, v6, v225                              // 000000007B9C: D1CB00E1 07860D0D
	v_fma_f32 v226, v14, v6, v226                              // 000000007BA4: D1CB00E2 078A0D0E
	v_fma_f32 v227, v15, v6, v227                              // 000000007BAC: D1CB00E3 078E0D0F
	v_mfma_f32_16x16x32_fp8_fp8 v[12:15], a[168:169], a[32:33], 0// 000000007BB4: D3F3000C 1A0241A8
	v_mfma_f32_16x16x32_fp8_fp8 v[12:15], a[170:171], a[34:35], v[12:15]// 000000007BBC: D3F3000C 1C3245AA
	v_mfma_f32_16x16x32_fp8_fp8 v[12:15], a[172:173], a[36:37], v[12:15]// 000000007BC4: D3F3000C 1C3249AC
	v_mfma_f32_16x16x32_fp8_fp8 v[12:15], a[174:175], a[38:39], v[12:15]// 000000007BCC: D3F3000C 1C324DAE
	ds_read_b128 a[152:155], v2 offset:45824                   // 000000007BD4: DBFEB300 98000002
	ds_read_b128 a[156:159], v2 offset:45888                   // 000000007BDC: DBFEB340 9C000002
	v_fma_f32 v188, v8, v4, v188                               // 000000007BE4: D1CB00BC 06F20908
	v_fma_f32 v189, v9, v4, v189                               // 000000007BEC: D1CB00BD 06F60909
	v_fma_f32 v190, v10, v4, v190                              // 000000007BF4: D1CB00BE 06FA090A
	v_fma_f32 v191, v11, v4, v191                              // 000000007BFC: D1CB00BF 06FE090B
	v_mul_f32_dpp v6, v28, v55 row_newbcast:0 row_mask:0xf bank_mask:0xf// 000000007C04: 0A0C6EFA FF01501C
	v_mfma_f32_16x16x32_fp8_fp8 v[8:11], a[160:161], a[40:41], 0// 000000007C0C: D3F30008 1A0251A0
	v_mfma_f32_16x16x32_fp8_fp8 v[8:11], a[162:163], a[42:43], v[8:11]// 000000007C14: D3F30008 1C2255A2
	v_mfma_f32_16x16x32_fp8_fp8 v[8:11], a[164:165], a[44:45], v[8:11]// 000000007C1C: D3F30008 1C2259A4
	v_mfma_f32_16x16x32_fp8_fp8 v[8:11], a[166:167], a[46:47], v[8:11]// 000000007C24: D3F30008 1C225DA6
	v_fma_f32 v228, v12, v4, v228                              // 000000007C2C: D1CB00E4 0792090C
	v_fma_f32 v229, v13, v4, v229                              // 000000007C34: D1CB00E5 0796090D
	v_fma_f32 v230, v14, v4, v230                              // 000000007C3C: D1CB00E6 079A090E
	v_fma_f32 v231, v15, v4, v231                              // 000000007C44: D1CB00E7 079E090F
	v_mfma_f32_16x16x32_fp8_fp8 v[12:15], a[168:169], a[40:41], 0// 000000007C4C: D3F3000C 1A0251A8
	v_mfma_f32_16x16x32_fp8_fp8 v[12:15], a[170:171], a[42:43], v[12:15]// 000000007C54: D3F3000C 1C3255AA
	v_mfma_f32_16x16x32_fp8_fp8 v[12:15], a[172:173], a[44:45], v[12:15]// 000000007C5C: D3F3000C 1C3259AC
	v_mfma_f32_16x16x32_fp8_fp8 v[12:15], a[174:175], a[46:47], v[12:15]// 000000007C64: D3F3000C 1C325DAE
	v_fma_f32 v192, v8, v6, v192                               // 000000007C6C: D1CB00C0 07020D08
	v_fma_f32 v193, v9, v6, v193                               // 000000007C74: D1CB00C1 07060D09
	v_fma_f32 v194, v10, v6, v194                              // 000000007C7C: D1CB00C2 070A0D0A
	v_fma_f32 v195, v11, v6, v195                              // 000000007C84: D1CB00C3 070E0D0B
	v_mul_f32_dpp v4, v28, v56 row_newbcast:0 row_mask:0xf bank_mask:0xf// 000000007C8C: 0A0870FA FF01501C
	v_mfma_f32_16x16x32_fp8_fp8 v[8:11], a[160:161], a[48:49], 0// 000000007C94: D3F30008 1A0261A0
	v_mfma_f32_16x16x32_fp8_fp8 v[8:11], a[162:163], a[50:51], v[8:11]// 000000007C9C: D3F30008 1C2265A2
	v_mfma_f32_16x16x32_fp8_fp8 v[8:11], a[164:165], a[52:53], v[8:11]// 000000007CA4: D3F30008 1C2269A4
	v_mfma_f32_16x16x32_fp8_fp8 v[8:11], a[166:167], a[54:55], v[8:11]// 000000007CAC: D3F30008 1C226DA6
	v_fma_f32 v232, v12, v6, v232                              // 000000007CB4: D1CB00E8 07A20D0C
	v_fma_f32 v233, v13, v6, v233                              // 000000007CBC: D1CB00E9 07A60D0D
	v_fma_f32 v234, v14, v6, v234                              // 000000007CC4: D1CB00EA 07AA0D0E
	v_fma_f32 v235, v15, v6, v235                              // 000000007CCC: D1CB00EB 07AE0D0F
	v_mfma_f32_16x16x32_fp8_fp8 v[12:15], a[168:169], a[48:49], 0// 000000007CD4: D3F3000C 1A0261A8
	v_mfma_f32_16x16x32_fp8_fp8 v[12:15], a[170:171], a[50:51], v[12:15]// 000000007CDC: D3F3000C 1C3265AA
	v_mfma_f32_16x16x32_fp8_fp8 v[12:15], a[172:173], a[52:53], v[12:15]// 000000007CE4: D3F3000C 1C3269AC
	v_mfma_f32_16x16x32_fp8_fp8 v[12:15], a[174:175], a[54:55], v[12:15]// 000000007CEC: D3F3000C 1C326DAE
	v_fma_f32 v196, v8, v4, v196                               // 000000007CF4: D1CB00C4 07120908
	v_fma_f32 v197, v9, v4, v197                               // 000000007CFC: D1CB00C5 07160909
	v_fma_f32 v198, v10, v4, v198                              // 000000007D04: D1CB00C6 071A090A
	v_fma_f32 v199, v11, v4, v199                              // 000000007D0C: D1CB00C7 071E090B
	v_mul_f32_dpp v6, v28, v57 row_newbcast:0 row_mask:0xf bank_mask:0xf// 000000007D14: 0A0C72FA FF01501C
	v_mfma_f32_16x16x32_fp8_fp8 v[8:11], a[160:161], a[56:57], 0// 000000007D1C: D3F30008 1A0271A0
	v_mfma_f32_16x16x32_fp8_fp8 v[8:11], a[162:163], a[58:59], v[8:11]// 000000007D24: D3F30008 1C2275A2
	v_mfma_f32_16x16x32_fp8_fp8 v[8:11], a[164:165], a[60:61], v[8:11]// 000000007D2C: D3F30008 1C2279A4
	v_mfma_f32_16x16x32_fp8_fp8 v[8:11], a[166:167], a[62:63], v[8:11]// 000000007D34: D3F30008 1C227DA6
	v_fma_f32 v236, v12, v4, v236                              // 000000007D3C: D1CB00EC 07B2090C
	v_fma_f32 v237, v13, v4, v237                              // 000000007D44: D1CB00ED 07B6090D
	v_fma_f32 v238, v14, v4, v238                              // 000000007D4C: D1CB00EE 07BA090E
	v_fma_f32 v239, v15, v4, v239                              // 000000007D54: D1CB00EF 07BE090F
	v_mfma_f32_16x16x32_fp8_fp8 v[12:15], a[168:169], a[56:57], 0// 000000007D5C: D3F3000C 1A0271A8
	v_mfma_f32_16x16x32_fp8_fp8 v[12:15], a[170:171], a[58:59], v[12:15]// 000000007D64: D3F3000C 1C3275AA
	v_mfma_f32_16x16x32_fp8_fp8 v[12:15], a[172:173], a[60:61], v[12:15]// 000000007D6C: D3F3000C 1C3279AC
	v_mfma_f32_16x16x32_fp8_fp8 v[12:15], a[174:175], a[62:63], v[12:15]// 000000007D74: D3F3000C 1C327DAE
	v_fma_f32 v200, v8, v6, v200                               // 000000007D7C: D1CB00C8 07220D08
	v_fma_f32 v201, v9, v6, v201                               // 000000007D84: D1CB00C9 07260D09
	v_fma_f32 v202, v10, v6, v202                              // 000000007D8C: D1CB00CA 072A0D0A
	v_fma_f32 v203, v11, v6, v203                              // 000000007D94: D1CB00CB 072E0D0B
	v_mul_f32_dpp v4, v28, v58 row_newbcast:0 row_mask:0xf bank_mask:0xf// 000000007D9C: 0A0874FA FF01501C
	v_mfma_f32_16x16x32_fp8_fp8 v[8:11], a[160:161], a[64:65], 0// 000000007DA4: D3F30008 1A0281A0
	v_mfma_f32_16x16x32_fp8_fp8 v[8:11], a[162:163], a[66:67], v[8:11]// 000000007DAC: D3F30008 1C2285A2
	v_mfma_f32_16x16x32_fp8_fp8 v[8:11], a[164:165], a[68:69], v[8:11]// 000000007DB4: D3F30008 1C2289A4
	v_mfma_f32_16x16x32_fp8_fp8 v[8:11], a[166:167], a[70:71], v[8:11]// 000000007DBC: D3F30008 1C228DA6
	v_fma_f32 v240, v12, v6, v240                              // 000000007DC4: D1CB00F0 07C20D0C
	v_fma_f32 v241, v13, v6, v241                              // 000000007DCC: D1CB00F1 07C60D0D
	v_fma_f32 v242, v14, v6, v242                              // 000000007DD4: D1CB00F2 07CA0D0E
	v_fma_f32 v243, v15, v6, v243                              // 000000007DDC: D1CB00F3 07CE0D0F
	v_mfma_f32_16x16x32_fp8_fp8 v[12:15], a[168:169], a[64:65], 0// 000000007DE4: D3F3000C 1A0281A8
	v_mfma_f32_16x16x32_fp8_fp8 v[12:15], a[170:171], a[66:67], v[12:15]// 000000007DEC: D3F3000C 1C3285AA
	v_mfma_f32_16x16x32_fp8_fp8 v[12:15], a[172:173], a[68:69], v[12:15]// 000000007DF4: D3F3000C 1C3289AC
	v_mfma_f32_16x16x32_fp8_fp8 v[12:15], a[174:175], a[70:71], v[12:15]// 000000007DFC: D3F3000C 1C328DAE
	v_fma_f32 v204, v8, v4, v204                               // 000000007E04: D1CB00CC 07320908
	v_fma_f32 v205, v9, v4, v205                               // 000000007E0C: D1CB00CD 07360909
	v_fma_f32 v206, v10, v4, v206                              // 000000007E14: D1CB00CE 073A090A
	v_fma_f32 v207, v11, v4, v207                              // 000000007E1C: D1CB00CF 073E090B
	v_mul_f32_dpp v6, v28, v59 row_newbcast:0 row_mask:0xf bank_mask:0xf// 000000007E24: 0A0C76FA FF01501C
	v_mfma_f32_16x16x32_fp8_fp8 v[8:11], a[160:161], a[72:73], 0// 000000007E2C: D3F30008 1A0291A0
	s_add_u32 s60, 0x180, s80                                  // 000000007E34: 803C50FF 00000180
	s_cmp_lt_u32 s60, s81                                      // 000000007E3C: BF0A513C
	s_cselect_b32 s57, s57, 0                                  // 000000007E40: 85398039
	s_cselect_b32 s3, s3, 0                                    // 000000007E44: 85038003
	v_mfma_f32_16x16x32_fp8_fp8 v[8:11], a[162:163], a[74:75], v[8:11]// 000000007E48: D3F30008 1C2295A2
	s_add_u32 s60, 0x100, s80                                  // 000000007E50: 803C50FF 00000100
	s_cmp_lt_u32 s60, s81                                      // 000000007E58: BF0A513C
	s_cselect_b32 s58, s58, 0                                  // 000000007E5C: 853A803A
	v_mfma_f32_16x16x32_fp8_fp8 v[8:11], a[164:165], a[76:77], v[8:11]// 000000007E60: D3F30008 1C2299A4
	s_add_u32 s60, 0x100, s80                                  // 000000007E68: 803C50FF 00000100
	s_cmp_lt_u32 s60, s81                                      // 000000007E70: BF0A513C
	s_cselect_b32 s83, s83, 0                                  // 000000007E74: 85538053
	s_cselect_b32 s4, s4, 0                                    // 000000007E78: 85048004
	v_mfma_f32_16x16x32_fp8_fp8 v[8:11], a[166:167], a[78:79], v[8:11]// 000000007E7C: D3F30008 1C229DA6
	s_add_u32 s24, s58, s24                                    // 000000007E84: 8018183A
	s_addc_u32 s25, 0, s25                                     // 000000007E88: 82191980
	v_fma_f32 v244, v12, v4, v244                              // 000000007E8C: D1CB00F4 07D2090C
	v_fma_f32 v245, v13, v4, v245                              // 000000007E94: D1CB00F5 07D6090D
	v_fma_f32 v246, v14, v4, v246                              // 000000007E9C: D1CB00F6 07DA090E
	v_fma_f32 v247, v15, v4, v247                              // 000000007EA4: D1CB00F7 07DE090F
	v_mfma_f32_16x16x32_fp8_fp8 v[12:15], a[168:169], a[72:73], 0// 000000007EAC: D3F3000C 1A0291A8
	s_add_u32 s20, s57, s20                                    // 000000007EB4: 80141439
	s_addc_u32 s21, 0, s21                                     // 000000007EB8: 82151580
	s_add_u32 s28, s3, s28                                     // 000000007EBC: 801C1C03
	s_addc_u32 s29, 0, s29                                     // 000000007EC0: 821D1D80
	v_mfma_f32_16x16x32_fp8_fp8 v[12:15], a[170:171], a[74:75], v[12:15]// 000000007EC4: D3F3000C 1C3295AA
	s_add_u32 s84, s83, s84                                    // 000000007ECC: 80545453
	s_addc_u32 s85, 0, s85                                     // 000000007ED0: 82555580
	v_mfma_f32_16x16x32_fp8_fp8 v[12:15], a[172:173], a[76:77], v[12:15]// 000000007ED4: D3F3000C 1C3299AC
	s_add_u32 s32, s4, s32                                     // 000000007EDC: 80202004
	s_addc_u32 s33, 0, s33                                     // 000000007EE0: 82212180
	v_mfma_f32_16x16x32_fp8_fp8 v[12:15], a[174:175], a[78:79], v[12:15]// 000000007EE4: D3F3000C 1C329DAE
	v_fma_f32 v208, v8, v6, v208                               // 000000007EEC: D1CB00D0 07420D08
	v_fma_f32 v209, v9, v6, v209                               // 000000007EF4: D1CB00D1 07460D09
	v_fma_f32 v210, v10, v6, v210                              // 000000007EFC: D1CB00D2 074A0D0A
	v_fma_f32 v211, v11, v6, v211                              // 000000007F04: D1CB00D3 074E0D0B
	v_fma_f32 v248, v12, v6, v248                              // 000000007F0C: D1CB00F8 07E20D0C
	v_fma_f32 v249, v13, v6, v249                              // 000000007F14: D1CB00F9 07E60D0D
	v_fma_f32 v250, v14, v6, v250                              // 000000007F1C: D1CB00FA 07EA0D0E
	v_fma_f32 v251, v15, v6, v251                              // 000000007F24: D1CB00FB 07EE0D0F
	s_addk_i32 s80, 0x80                                       // 000000007F2C: B7500080
	s_cmp_lt_i32 s80, s81                                      // 000000007F30: BF045150
	s_cbranch_scc0 label_18B4                                  // 000000007F34: BF840366
	s_waitcnt vmcnt(35) lgkmcnt(0)                             // 000000007F38: BF8C8073
	v_mul_f32_dpp v4, v26, v60 row_newbcast:0 row_mask:0xf bank_mask:0xf// 000000007F3C: 0A0878FA FF01501A
	v_mfma_f32_16x16x32_fp8_fp8 v[8:11], a[176:177], a[80:81], 0// 000000007F44: D3F30008 1A02A1B0
	buffer_load_dword v24, v22, s[32:35], 0 offen              // 000000007F4C: E0501000 80081816
	v_mfma_f32_16x16x32_fp8_fp8 v[8:11], a[178:179], a[82:83], v[8:11]// 000000007F54: D3F30008 1C22A5B2
	buffer_load_dwordx4 a[160:163], v90, s[24:27], 0 offen     // 000000007F5C: E05C1000 8086A05A
	v_mfma_f32_16x16x32_fp8_fp8 v[8:11], a[180:181], a[84:85], v[8:11]// 000000007F64: D3F30008 1C22A9B4
	v_mfma_f32_16x16x32_fp8_fp8 v[8:11], a[182:183], a[86:87], v[8:11]// 000000007F6C: D3F30008 1C22ADB6
	v_mfma_f32_16x16x32_fp8_fp8 v[12:15], a[184:185], a[80:81], 0// 000000007F74: D3F3000C 1A02A1B8
	v_mfma_f32_16x16x32_fp8_fp8 v[12:15], a[186:187], a[82:83], v[12:15]// 000000007F7C: D3F3000C 1C32A5BA
	buffer_load_dwordx4 a[164:167], v90, s[24:27], 0 offen offset:1024// 000000007F84: E05C1400 8086A45A
	v_mfma_f32_16x16x32_fp8_fp8 v[12:15], a[188:189], a[84:85], v[12:15]// 000000007F8C: D3F3000C 1C32A9BC
	v_mfma_f32_16x16x32_fp8_fp8 v[12:15], a[190:191], a[86:87], v[12:15]// 000000007F94: D3F3000C 1C32ADBE
	v_fma_f32 v92, v8, v4, v92                                 // 000000007F9C: D1CB005C 05720908
	v_fma_f32 v93, v9, v4, v93                                 // 000000007FA4: D1CB005D 05760909
	v_fma_f32 v94, v10, v4, v94                                // 000000007FAC: D1CB005E 057A090A
	v_fma_f32 v95, v11, v4, v95                                // 000000007FB4: D1CB005F 057E090B
	v_mul_f32_dpp v6, v26, v61 row_newbcast:0 row_mask:0xf bank_mask:0xf// 000000007FBC: 0A0C7AFA FF01501A
	v_mfma_f32_16x16x32_fp8_fp8 v[8:11], a[176:177], a[88:89], 0// 000000007FC4: D3F30008 1A02B1B0
	v_mfma_f32_16x16x32_fp8_fp8 v[8:11], a[178:179], a[90:91], v[8:11]// 000000007FCC: D3F30008 1C22B5B2
	buffer_load_dwordx4 a[168:171], v91, s[24:27], 0 offen     // 000000007FD4: E05C1000 8086A85B
	v_mfma_f32_16x16x32_fp8_fp8 v[8:11], a[180:181], a[92:93], v[8:11]// 000000007FDC: D3F30008 1C22B9B4
	v_mfma_f32_16x16x32_fp8_fp8 v[8:11], a[182:183], a[94:95], v[8:11]// 000000007FE4: D3F30008 1C22BDB6
	v_fma_f32 v132, v12, v4, v132                              // 000000007FEC: D1CB0084 0612090C
	v_fma_f32 v133, v13, v4, v133                              // 000000007FF4: D1CB0085 0616090D
	v_fma_f32 v134, v14, v4, v134                              // 000000007FFC: D1CB0086 061A090E
	v_fma_f32 v135, v15, v4, v135                              // 000000008004: D1CB0087 061E090F
	v_mfma_f32_16x16x32_fp8_fp8 v[12:15], a[184:185], a[88:89], 0// 00000000800C: D3F3000C 1A02B1B8
	v_mfma_f32_16x16x32_fp8_fp8 v[12:15], a[186:187], a[90:91], v[12:15]// 000000008014: D3F3000C 1C32B5BA
	buffer_load_dwordx4 a[172:175], v91, s[24:27], 0 offen offset:1024// 00000000801C: E05C1400 8086AC5B
	buffer_load_dword v70, s[20:23], 0 offen lds               // 000000008024: E0511000 80050046
	s_add_u32 m0, 0x100, s49                                   // 00000000802C: 807C31FF 00000100
	v_mfma_f32_16x16x32_fp8_fp8 v[12:15], a[188:189], a[92:93], v[12:15]// 000000008034: D3F3000C 1C32B9BC
	v_mfma_f32_16x16x32_fp8_fp8 v[12:15], a[190:191], a[94:95], v[12:15]// 00000000803C: D3F3000C 1C32BDBE
	buffer_load_dword v71, s[20:23], 0 offen lds               // 000000008044: E0511000 80050047
	s_add_u32 m0, 0x200, s49                                   // 00000000804C: 807C31FF 00000200
	v_fma_f32 v96, v8, v6, v96                                 // 000000008054: D1CB0060 05820D08
	v_fma_f32 v97, v9, v6, v97                                 // 00000000805C: D1CB0061 05860D09
	v_fma_f32 v98, v10, v6, v98                                // 000000008064: D1CB0062 058A0D0A
	v_fma_f32 v99, v11, v6, v99                                // 00000000806C: D1CB0063 058E0D0B
	v_mul_f32_dpp v4, v26, v62 row_newbcast:0 row_mask:0xf bank_mask:0xf// 000000008074: 0A087CFA FF01501A
	v_mfma_f32_16x16x32_fp8_fp8 v[8:11], a[176:177], a[96:97], 0// 00000000807C: D3F30008 1A02C1B0
	v_mfma_f32_16x16x32_fp8_fp8 v[8:11], a[178:179], a[98:99], v[8:11]// 000000008084: D3F30008 1C22C5B2
	buffer_load_dword v72, s[20:23], 0 offen lds               // 00000000808C: E0511000 80050048
	s_add_u32 m0, 0x300, s49                                   // 000000008094: 807C31FF 00000300
	v_mfma_f32_16x16x32_fp8_fp8 v[8:11], a[180:181], a[100:101], v[8:11]// 00000000809C: D3F30008 1C22C9B4
	v_mfma_f32_16x16x32_fp8_fp8 v[8:11], a[182:183], a[102:103], v[8:11]// 0000000080A4: D3F30008 1C22CDB6
	buffer_load_dword v73, s[20:23], 0 offen lds               // 0000000080AC: E0511000 80050049
	s_add_u32 m0, 0x400, s49                                   // 0000000080B4: 807C31FF 00000400
	v_fma_f32 v136, v12, v6, v136                              // 0000000080BC: D1CB0088 06220D0C
	v_fma_f32 v137, v13, v6, v137                              // 0000000080C4: D1CB0089 06260D0D
	v_fma_f32 v138, v14, v6, v138                              // 0000000080CC: D1CB008A 062A0D0E
	v_fma_f32 v139, v15, v6, v139                              // 0000000080D4: D1CB008B 062E0D0F
	v_mfma_f32_16x16x32_fp8_fp8 v[12:15], a[184:185], a[96:97], 0// 0000000080DC: D3F3000C 1A02C1B8
	v_mfma_f32_16x16x32_fp8_fp8 v[12:15], a[186:187], a[98:99], v[12:15]// 0000000080E4: D3F3000C 1C32C5BA
	buffer_load_dword v74, s[20:23], 0 offen lds               // 0000000080EC: E0511000 8005004A
	s_add_u32 m0, 0x500, s49                                   // 0000000080F4: 807C31FF 00000500
	v_mfma_f32_16x16x32_fp8_fp8 v[12:15], a[188:189], a[100:101], v[12:15]// 0000000080FC: D3F3000C 1C32C9BC
	v_mfma_f32_16x16x32_fp8_fp8 v[12:15], a[190:191], a[102:103], v[12:15]// 000000008104: D3F3000C 1C32CDBE
	buffer_load_dword v75, s[20:23], 0 offen lds               // 00000000810C: E0511000 8005004B
	s_add_u32 m0, 0x600, s49                                   // 000000008114: 807C31FF 00000600
	v_fma_f32 v100, v8, v4, v100                               // 00000000811C: D1CB0064 05920908
	v_fma_f32 v101, v9, v4, v101                               // 000000008124: D1CB0065 05960909
	v_fma_f32 v102, v10, v4, v102                              // 00000000812C: D1CB0066 059A090A
	v_fma_f32 v103, v11, v4, v103                              // 000000008134: D1CB0067 059E090B
	v_mul_f32_dpp v6, v26, v63 row_newbcast:0 row_mask:0xf bank_mask:0xf// 00000000813C: 0A0C7EFA FF01501A
	v_mfma_f32_16x16x32_fp8_fp8 v[8:11], a[176:177], a[104:105], 0// 000000008144: D3F30008 1A02D1B0
	v_mfma_f32_16x16x32_fp8_fp8 v[8:11], a[178:179], a[106:107], v[8:11]// 00000000814C: D3F30008 1C22D5B2
	buffer_load_dword v76, s[20:23], 0 offen lds               // 000000008154: E0511000 8005004C
	s_add_u32 m0, 0x700, s49                                   // 00000000815C: 807C31FF 00000700
	v_mfma_f32_16x16x32_fp8_fp8 v[8:11], a[180:181], a[108:109], v[8:11]// 000000008164: D3F30008 1C22D9B4
	v_mfma_f32_16x16x32_fp8_fp8 v[8:11], a[182:183], a[110:111], v[8:11]// 00000000816C: D3F30008 1C22DDB6
	buffer_load_dword v77, s[20:23], 0 offen lds               // 000000008174: E0511000 8005004D
	s_add_u32 m0, 0x800, s49                                   // 00000000817C: 807C31FF 00000800
	v_fma_f32 v140, v12, v4, v140                              // 000000008184: D1CB008C 0632090C
	v_fma_f32 v141, v13, v4, v141                              // 00000000818C: D1CB008D 0636090D
	v_fma_f32 v142, v14, v4, v142                              // 000000008194: D1CB008E 063A090E
	v_fma_f32 v143, v15, v4, v143                              // 00000000819C: D1CB008F 063E090F
	v_mfma_f32_16x16x32_fp8_fp8 v[12:15], a[184:185], a[104:105], 0// 0000000081A4: D3F3000C 1A02D1B8
	v_mfma_f32_16x16x32_fp8_fp8 v[12:15], a[186:187], a[106:107], v[12:15]// 0000000081AC: D3F3000C 1C32D5BA
	buffer_load_dword v78, s[20:23], 0 offen lds               // 0000000081B4: E0511000 8005004E
	s_add_u32 m0, 0x900, s49                                   // 0000000081BC: 807C31FF 00000900
	v_mfma_f32_16x16x32_fp8_fp8 v[12:15], a[188:189], a[108:109], v[12:15]// 0000000081C4: D3F3000C 1C32D9BC
	v_mfma_f32_16x16x32_fp8_fp8 v[12:15], a[190:191], a[110:111], v[12:15]// 0000000081CC: D3F3000C 1C32DDBE
	buffer_load_dword v79, s[20:23], 0 offen lds               // 0000000081D4: E0511000 8005004F
	s_add_u32 m0, 0xa00, s49                                   // 0000000081DC: 807C31FF 00000A00
	v_fma_f32 v104, v8, v6, v104                               // 0000000081E4: D1CB0068 05A20D08
	v_fma_f32 v105, v9, v6, v105                               // 0000000081EC: D1CB0069 05A60D09
	v_fma_f32 v106, v10, v6, v106                              // 0000000081F4: D1CB006A 05AA0D0A
	v_fma_f32 v107, v11, v6, v107                              // 0000000081FC: D1CB006B 05AE0D0B
	v_mul_f32_dpp v4, v26, v64 row_newbcast:0 row_mask:0xf bank_mask:0xf// 000000008204: 0A0880FA FF01501A
	v_mfma_f32_16x16x32_fp8_fp8 v[8:11], a[176:177], a[112:113], 0// 00000000820C: D3F30008 1A02E1B0
	v_mfma_f32_16x16x32_fp8_fp8 v[8:11], a[178:179], a[114:115], v[8:11]// 000000008214: D3F30008 1C22E5B2
	buffer_load_dword v80, s[20:23], 0 offen lds               // 00000000821C: E0511000 80050050
	s_add_u32 m0, 0xb00, s49                                   // 000000008224: 807C31FF 00000B00
	v_mfma_f32_16x16x32_fp8_fp8 v[8:11], a[180:181], a[116:117], v[8:11]// 00000000822C: D3F30008 1C22E9B4
	v_mfma_f32_16x16x32_fp8_fp8 v[8:11], a[182:183], a[118:119], v[8:11]// 000000008234: D3F30008 1C22EDB6
	buffer_load_dword v81, s[20:23], 0 offen lds               // 00000000823C: E0511000 80050051
	s_add_u32 m0, 0xc00, s49                                   // 000000008244: 807C31FF 00000C00
	v_fma_f32 v144, v12, v6, v144                              // 00000000824C: D1CB0090 06420D0C
	v_fma_f32 v145, v13, v6, v145                              // 000000008254: D1CB0091 06460D0D
	v_fma_f32 v146, v14, v6, v146                              // 00000000825C: D1CB0092 064A0D0E
	v_fma_f32 v147, v15, v6, v147                              // 000000008264: D1CB0093 064E0D0F
	v_mfma_f32_16x16x32_fp8_fp8 v[12:15], a[184:185], a[112:113], 0// 00000000826C: D3F3000C 1A02E1B8
	v_mfma_f32_16x16x32_fp8_fp8 v[12:15], a[186:187], a[114:115], v[12:15]// 000000008274: D3F3000C 1C32E5BA
	buffer_load_dword v82, s[20:23], 0 offen lds               // 00000000827C: E0511000 80050052
	s_add_u32 m0, 0xd00, s49                                   // 000000008284: 807C31FF 00000D00
	v_mfma_f32_16x16x32_fp8_fp8 v[12:15], a[188:189], a[116:117], v[12:15]// 00000000828C: D3F3000C 1C32E9BC
	v_mfma_f32_16x16x32_fp8_fp8 v[12:15], a[190:191], a[118:119], v[12:15]// 000000008294: D3F3000C 1C32EDBE
	buffer_load_dword v83, s[20:23], 0 offen lds               // 00000000829C: E0511000 80050053
	s_add_u32 m0, 0xe00, s49                                   // 0000000082A4: 807C31FF 00000E00
	v_fma_f32 v108, v8, v4, v108                               // 0000000082AC: D1CB006C 05B20908
	v_fma_f32 v109, v9, v4, v109                               // 0000000082B4: D1CB006D 05B60909
	v_fma_f32 v110, v10, v4, v110                              // 0000000082BC: D1CB006E 05BA090A
	v_fma_f32 v111, v11, v4, v111                              // 0000000082C4: D1CB006F 05BE090B
	v_mul_f32_dpp v6, v26, v65 row_newbcast:0 row_mask:0xf bank_mask:0xf// 0000000082CC: 0A0C82FA FF01501A
	v_mfma_f32_16x16x32_fp8_fp8 v[8:11], a[176:177], a[120:121], 0// 0000000082D4: D3F30008 1A02F1B0
	v_mfma_f32_16x16x32_fp8_fp8 v[8:11], a[178:179], a[122:123], v[8:11]// 0000000082DC: D3F30008 1C22F5B2
	buffer_load_dword v84, s[20:23], 0 offen lds               // 0000000082E4: E0511000 80050054
	s_add_u32 m0, 0xf00, s49                                   // 0000000082EC: 807C31FF 00000F00
	v_mfma_f32_16x16x32_fp8_fp8 v[8:11], a[180:181], a[124:125], v[8:11]// 0000000082F4: D3F30008 1C22F9B4
	v_mfma_f32_16x16x32_fp8_fp8 v[8:11], a[182:183], a[126:127], v[8:11]// 0000000082FC: D3F30008 1C22FDB6
	buffer_load_dword v85, s[20:23], 0 offen lds               // 000000008304: E0511000 80050055
	s_add_u32 m0, 0x1000, s49                                  // 00000000830C: 807C31FF 00001000
	v_fma_f32 v148, v12, v4, v148                              // 000000008314: D1CB0094 0652090C
	v_fma_f32 v149, v13, v4, v149                              // 00000000831C: D1CB0095 0656090D
	v_fma_f32 v150, v14, v4, v150                              // 000000008324: D1CB0096 065A090E
	v_fma_f32 v151, v15, v4, v151                              // 00000000832C: D1CB0097 065E090F
	v_mfma_f32_16x16x32_fp8_fp8 v[12:15], a[184:185], a[120:121], 0// 000000008334: D3F3000C 1A02F1B8
	v_mfma_f32_16x16x32_fp8_fp8 v[12:15], a[186:187], a[122:123], v[12:15]// 00000000833C: D3F3000C 1C32F5BA
	buffer_load_dword v86, s[20:23], 0 offen lds               // 000000008344: E0511000 80050056
	s_add_u32 m0, 0x1100, s49                                  // 00000000834C: 807C31FF 00001100
	v_mfma_f32_16x16x32_fp8_fp8 v[12:15], a[188:189], a[124:125], v[12:15]// 000000008354: D3F3000C 1C32F9BC
	v_mfma_f32_16x16x32_fp8_fp8 v[12:15], a[190:191], a[126:127], v[12:15]// 00000000835C: D3F3000C 1C32FDBE
	buffer_load_dword v87, s[20:23], 0 offen lds               // 000000008364: E0511000 80050057
	s_add_u32 m0, 0x1200, s49                                  // 00000000836C: 807C31FF 00001200
	v_fma_f32 v112, v8, v6, v112                               // 000000008374: D1CB0070 05C20D08
	v_fma_f32 v113, v9, v6, v113                               // 00000000837C: D1CB0071 05C60D09
	v_fma_f32 v114, v10, v6, v114                              // 000000008384: D1CB0072 05CA0D0A
	v_fma_f32 v115, v11, v6, v115                              // 00000000838C: D1CB0073 05CE0D0B
	v_mul_f32_dpp v4, v26, v66 row_newbcast:0 row_mask:0xf bank_mask:0xf// 000000008394: 0A0884FA FF01501A
	v_mfma_f32_16x16x32_fp8_fp8 v[8:11], a[176:177], a[128:129], 0// 00000000839C: D3F30008 1A0301B0
	v_mfma_f32_16x16x32_fp8_fp8 v[8:11], a[178:179], a[130:131], v[8:11]// 0000000083A4: D3F30008 1C2305B2
	buffer_load_dword v88, s[20:23], 0 offen lds               // 0000000083AC: E0511000 80050058
	s_add_u32 m0, 0x1300, s49                                  // 0000000083B4: 807C31FF 00001300
	v_mfma_f32_16x16x32_fp8_fp8 v[8:11], a[180:181], a[132:133], v[8:11]// 0000000083BC: D3F30008 1C2309B4
	v_mfma_f32_16x16x32_fp8_fp8 v[8:11], a[182:183], a[134:135], v[8:11]// 0000000083C4: D3F30008 1C230DB6
	buffer_load_dword v89, s[20:23], 0 offen lds               // 0000000083CC: E0511000 80050059
	s_add_u32 m0, 0, s50                                       // 0000000083D4: 807C3280
	v_fma_f32 v152, v12, v6, v152                              // 0000000083D8: D1CB0098 06620D0C
	v_fma_f32 v153, v13, v6, v153                              // 0000000083E0: D1CB0099 06660D0D
	v_fma_f32 v154, v14, v6, v154                              // 0000000083E8: D1CB009A 066A0D0E
	v_fma_f32 v155, v15, v6, v155                              // 0000000083F0: D1CB009B 066E0D0F
	v_mfma_f32_16x16x32_fp8_fp8 v[12:15], a[184:185], a[128:129], 0// 0000000083F8: D3F3000C 1A0301B8
	v_mfma_f32_16x16x32_fp8_fp8 v[12:15], a[186:187], a[130:131], v[12:15]// 000000008400: D3F3000C 1C3305BA
	buffer_load_dword v50, v30, s[28:31], 0 offen              // 000000008408: E0501000 8007321E
	v_mfma_f32_16x16x32_fp8_fp8 v[12:15], a[188:189], a[132:133], v[12:15]// 000000008410: D3F3000C 1C3309BC
	v_mfma_f32_16x16x32_fp8_fp8 v[12:15], a[190:191], a[134:135], v[12:15]// 000000008418: D3F3000C 1C330DBE
	buffer_load_dword v51, v31, s[28:31], 0 offen              // 000000008420: E0501000 8007331F
	v_fma_f32 v116, v8, v4, v116                               // 000000008428: D1CB0074 05D20908
	v_fma_f32 v117, v9, v4, v117                               // 000000008430: D1CB0075 05D60909
	v_fma_f32 v118, v10, v4, v118                              // 000000008438: D1CB0076 05DA090A
	v_fma_f32 v119, v11, v4, v119                              // 000000008440: D1CB0077 05DE090B
	v_mul_f32_dpp v6, v26, v67 row_newbcast:0 row_mask:0xf bank_mask:0xf// 000000008448: 0A0C86FA FF01501A
	v_mfma_f32_16x16x32_fp8_fp8 v[8:11], a[176:177], a[136:137], 0// 000000008450: D3F30008 1A0311B0
	v_mfma_f32_16x16x32_fp8_fp8 v[8:11], a[178:179], a[138:139], v[8:11]// 000000008458: D3F30008 1C2315B2
	buffer_load_dword v52, v32, s[28:31], 0 offen              // 000000008460: E0501000 80073420
	v_mfma_f32_16x16x32_fp8_fp8 v[8:11], a[180:181], a[140:141], v[8:11]// 000000008468: D3F30008 1C2319B4
	v_mfma_f32_16x16x32_fp8_fp8 v[8:11], a[182:183], a[142:143], v[8:11]// 000000008470: D3F30008 1C231DB6
	buffer_load_dword v53, v33, s[28:31], 0 offen              // 000000008478: E0501000 80073521
	v_fma_f32 v156, v12, v4, v156                              // 000000008480: D1CB009C 0672090C
	v_fma_f32 v157, v13, v4, v157                              // 000000008488: D1CB009D 0676090D
	v_fma_f32 v158, v14, v4, v158                              // 000000008490: D1CB009E 067A090E
	v_fma_f32 v159, v15, v4, v159                              // 000000008498: D1CB009F 067E090F
	v_mfma_f32_16x16x32_fp8_fp8 v[12:15], a[184:185], a[136:137], 0// 0000000084A0: D3F3000C 1A0311B8
	v_mfma_f32_16x16x32_fp8_fp8 v[12:15], a[186:187], a[138:139], v[12:15]// 0000000084A8: D3F3000C 1C3315BA
	buffer_load_dword v54, v34, s[28:31], 0 offen              // 0000000084B0: E0501000 80073622
	v_mfma_f32_16x16x32_fp8_fp8 v[12:15], a[188:189], a[140:141], v[12:15]// 0000000084B8: D3F3000C 1C3319BC
	v_mfma_f32_16x16x32_fp8_fp8 v[12:15], a[190:191], a[142:143], v[12:15]// 0000000084C0: D3F3000C 1C331DBE
	buffer_load_dword v55, v35, s[28:31], 0 offen              // 0000000084C8: E0501000 80073723
	v_fma_f32 v120, v8, v6, v120                               // 0000000084D0: D1CB0078 05E20D08
	v_fma_f32 v121, v9, v6, v121                               // 0000000084D8: D1CB0079 05E60D09
	v_fma_f32 v122, v10, v6, v122                              // 0000000084E0: D1CB007A 05EA0D0A
	v_fma_f32 v123, v11, v6, v123                              // 0000000084E8: D1CB007B 05EE0D0B
	v_mul_f32_dpp v4, v26, v68 row_newbcast:0 row_mask:0xf bank_mask:0xf// 0000000084F0: 0A0888FA FF01501A
	v_mfma_f32_16x16x32_fp8_fp8 v[8:11], a[176:177], a[144:145], 0// 0000000084F8: D3F30008 1A0321B0
	v_mfma_f32_16x16x32_fp8_fp8 v[8:11], a[178:179], a[146:147], v[8:11]// 000000008500: D3F30008 1C2325B2
	buffer_load_dword v56, v36, s[28:31], 0 offen              // 000000008508: E0501000 80073824
	v_mfma_f32_16x16x32_fp8_fp8 v[8:11], a[180:181], a[148:149], v[8:11]// 000000008510: D3F30008 1C2329B4
	v_mfma_f32_16x16x32_fp8_fp8 v[8:11], a[182:183], a[150:151], v[8:11]// 000000008518: D3F30008 1C232DB6
	buffer_load_dword v57, v37, s[28:31], 0 offen              // 000000008520: E0501000 80073925
	v_fma_f32 v160, v12, v6, v160                              // 000000008528: D1CB00A0 06820D0C
	v_fma_f32 v161, v13, v6, v161                              // 000000008530: D1CB00A1 06860D0D
	v_fma_f32 v162, v14, v6, v162                              // 000000008538: D1CB00A2 068A0D0E
	v_fma_f32 v163, v15, v6, v163                              // 000000008540: D1CB00A3 068E0D0F
	v_mfma_f32_16x16x32_fp8_fp8 v[12:15], a[184:185], a[144:145], 0// 000000008548: D3F3000C 1A0321B8
	v_mfma_f32_16x16x32_fp8_fp8 v[12:15], a[186:187], a[146:147], v[12:15]// 000000008550: D3F3000C 1C3325BA
	buffer_load_dword v58, v38, s[28:31], 0 offen              // 000000008558: E0501000 80073A26
	v_mfma_f32_16x16x32_fp8_fp8 v[12:15], a[188:189], a[148:149], v[12:15]// 000000008560: D3F3000C 1C3329BC
	v_mfma_f32_16x16x32_fp8_fp8 v[12:15], a[190:191], a[150:151], v[12:15]// 000000008568: D3F3000C 1C332DBE
	buffer_load_dword v59, v39, s[28:31], 0 offen              // 000000008570: E0501000 80073B27
	v_fma_f32 v124, v8, v4, v124                               // 000000008578: D1CB007C 05F20908
	v_fma_f32 v125, v9, v4, v125                               // 000000008580: D1CB007D 05F60909
	v_fma_f32 v126, v10, v4, v126                              // 000000008588: D1CB007E 05FA090A
	v_fma_f32 v127, v11, v4, v127                              // 000000008590: D1CB007F 05FE090B
	v_mul_f32_dpp v6, v26, v69 row_newbcast:0 row_mask:0xf bank_mask:0xf// 000000008598: 0A0C8AFA FF01501A
	v_mfma_f32_16x16x32_fp8_fp8 v[8:11], a[176:177], a[152:153], 0// 0000000085A0: D3F30008 1A0331B0
	v_mfma_f32_16x16x32_fp8_fp8 v[8:11], a[178:179], a[154:155], v[8:11]// 0000000085A8: D3F30008 1C2335B2
	v_mfma_f32_16x16x32_fp8_fp8 v[8:11], a[180:181], a[156:157], v[8:11]// 0000000085B0: D3F30008 1C2339B4
	v_mfma_f32_16x16x32_fp8_fp8 v[8:11], a[182:183], a[158:159], v[8:11]// 0000000085B8: D3F30008 1C233DB6
	v_fma_f32 v164, v12, v4, v164                              // 0000000085C0: D1CB00A4 0692090C
	v_fma_f32 v165, v13, v4, v165                              // 0000000085C8: D1CB00A5 0696090D
	v_fma_f32 v166, v14, v4, v166                              // 0000000085D0: D1CB00A6 069A090E
	v_fma_f32 v167, v15, v4, v167                              // 0000000085D8: D1CB00A7 069E090F
	v_mfma_f32_16x16x32_fp8_fp8 v[12:15], a[184:185], a[152:153], 0// 0000000085E0: D3F3000C 1A0331B8
	v_mfma_f32_16x16x32_fp8_fp8 v[12:15], a[186:187], a[154:155], v[12:15]// 0000000085E8: D3F3000C 1C3335BA
	v_mfma_f32_16x16x32_fp8_fp8 v[12:15], a[188:189], a[156:157], v[12:15]// 0000000085F0: D3F3000C 1C3339BC
	v_mfma_f32_16x16x32_fp8_fp8 v[12:15], a[190:191], a[158:159], v[12:15]// 0000000085F8: D3F3000C 1C333DBE
	v_fma_f32 v128, v8, v6, v128                               // 000000008600: D1CB0080 06020D08
	v_fma_f32 v129, v9, v6, v129                               // 000000008608: D1CB0081 06060D09
	v_fma_f32 v130, v10, v6, v130                              // 000000008610: D1CB0082 060A0D0A
	v_fma_f32 v131, v11, v6, v131                              // 000000008618: D1CB0083 060E0D0B
	v_fma_f32 v168, v12, v6, v168                              // 000000008620: D1CB00A8 06A20D0C
	v_fma_f32 v169, v13, v6, v169                              // 000000008628: D1CB00A9 06A60D0D
	v_fma_f32 v170, v14, v6, v170                              // 000000008630: D1CB00AA 06AA0D0E
	v_fma_f32 v171, v15, v6, v171                              // 000000008638: D1CB00AB 06AE0D0F
	s_waitcnt vmcnt(35)                                        // 000000008640: BF8C8F73
	s_barrier                                                  // 000000008644: BF8A0000
	v_mul_f32_dpp v4, v29, v60 row_newbcast:0 row_mask:0xf bank_mask:0xf// 000000008648: 0A0878FA FF01501D
	v_mfma_f32_16x16x32_fp8_fp8 v[8:11], a[192:193], a[80:81], 0// 000000008650: D3F30008 1A02A1C0
	buffer_load_dword v27, v23, s[32:35], 0 offen              // 000000008658: E0501000 80081B17
	v_mfma_f32_16x16x32_fp8_fp8 v[8:11], a[194:195], a[82:83], v[8:11]// 000000008660: D3F30008 1C22A5C2
	buffer_load_dwordx4 a[176:179], v90, s[84:87], 0 offen     // 000000008668: E05C1000 8095B05A
	v_mfma_f32_16x16x32_fp8_fp8 v[8:11], a[196:197], a[84:85], v[8:11]// 000000008670: D3F30008 1C22A9C4
	v_mfma_f32_16x16x32_fp8_fp8 v[8:11], a[198:199], a[86:87], v[8:11]// 000000008678: D3F30008 1C22ADC6
	ds_read_b128 a[0:3], v2                                    // 000000008680: DBFE0000 00000002
	ds_read_b128 a[4:7], v2 offset:64                          // 000000008688: DBFE0040 04000002
	v_mfma_f32_16x16x32_fp8_fp8 v[12:15], a[200:201], a[80:81], 0// 000000008690: D3F3000C 1A02A1C8
	v_mfma_f32_16x16x32_fp8_fp8 v[12:15], a[202:203], a[82:83], v[12:15]// 000000008698: D3F3000C 1C32A5CA
	buffer_load_dwordx4 a[180:183], v90, s[84:87], 0 offen offset:1024// 0000000086A0: E05C1400 8095B45A
	v_mfma_f32_16x16x32_fp8_fp8 v[12:15], a[204:205], a[84:85], v[12:15]// 0000000086A8: D3F3000C 1C32A9CC
	v_mfma_f32_16x16x32_fp8_fp8 v[12:15], a[206:207], a[86:87], v[12:15]// 0000000086B0: D3F3000C 1C32ADCE
	ds_read_b128 a[8:11], v2 offset:512                        // 0000000086B8: DBFE0200 08000002
	ds_read_b128 a[12:15], v2 offset:576                       // 0000000086C0: DBFE0240 0C000002
	v_fma_f32 v172, v8, v4, v172                               // 0000000086C8: D1CB00AC 06B20908
	v_fma_f32 v173, v9, v4, v173                               // 0000000086D0: D1CB00AD 06B60909
	v_fma_f32 v174, v10, v4, v174                              // 0000000086D8: D1CB00AE 06BA090A
	v_fma_f32 v175, v11, v4, v175                              // 0000000086E0: D1CB00AF 06BE090B
	v_mul_f32_dpp v6, v29, v61 row_newbcast:0 row_mask:0xf bank_mask:0xf// 0000000086E8: 0A0C7AFA FF01501D
	v_mfma_f32_16x16x32_fp8_fp8 v[8:11], a[192:193], a[88:89], 0// 0000000086F0: D3F30008 1A02B1C0
	v_mfma_f32_16x16x32_fp8_fp8 v[8:11], a[194:195], a[90:91], v[8:11]// 0000000086F8: D3F30008 1C22B5C2
	buffer_load_dwordx4 a[184:187], v91, s[84:87], 0 offen     // 000000008700: E05C1000 8095B85B
	v_mfma_f32_16x16x32_fp8_fp8 v[8:11], a[196:197], a[92:93], v[8:11]// 000000008708: D3F30008 1C22B9C4
	v_mfma_f32_16x16x32_fp8_fp8 v[8:11], a[198:199], a[94:95], v[8:11]// 000000008710: D3F30008 1C22BDC6
	ds_read_b128 a[16:19], v2 offset:1024                      // 000000008718: DBFE0400 10000002
	ds_read_b128 a[20:23], v2 offset:1088                      // 000000008720: DBFE0440 14000002
	v_fma_f32 v212, v12, v4, v212                              // 000000008728: D1CB00D4 0752090C
	v_fma_f32 v213, v13, v4, v213                              // 000000008730: D1CB00D5 0756090D
	v_fma_f32 v214, v14, v4, v214                              // 000000008738: D1CB00D6 075A090E
	v_fma_f32 v215, v15, v4, v215                              // 000000008740: D1CB00D7 075E090F
	v_mfma_f32_16x16x32_fp8_fp8 v[12:15], a[200:201], a[88:89], 0// 000000008748: D3F3000C 1A02B1C8
	v_mfma_f32_16x16x32_fp8_fp8 v[12:15], a[202:203], a[90:91], v[12:15]// 000000008750: D3F3000C 1C32B5CA
	buffer_load_dwordx4 a[188:191], v91, s[84:87], 0 offen offset:1024// 000000008758: E05C1400 8095BC5B
	v_mfma_f32_16x16x32_fp8_fp8 v[12:15], a[204:205], a[92:93], v[12:15]// 000000008760: D3F3000C 1C32B9CC
	v_mfma_f32_16x16x32_fp8_fp8 v[12:15], a[206:207], a[94:95], v[12:15]// 000000008768: D3F3000C 1C32BDCE
	ds_read_b128 a[24:27], v2 offset:1536                      // 000000008770: DBFE0600 18000002
	ds_read_b128 a[28:31], v2 offset:1600                      // 000000008778: DBFE0640 1C000002
	v_fma_f32 v176, v8, v6, v176                               // 000000008780: D1CB00B0 06C20D08
	v_fma_f32 v177, v9, v6, v177                               // 000000008788: D1CB00B1 06C60D09
	v_fma_f32 v178, v10, v6, v178                              // 000000008790: D1CB00B2 06CA0D0A
	v_fma_f32 v179, v11, v6, v179                              // 000000008798: D1CB00B3 06CE0D0B
	v_mul_f32_dpp v4, v29, v62 row_newbcast:0 row_mask:0xf bank_mask:0xf// 0000000087A0: 0A087CFA FF01501D
	v_mfma_f32_16x16x32_fp8_fp8 v[8:11], a[192:193], a[96:97], 0// 0000000087A8: D3F30008 1A02C1C0
	v_mfma_f32_16x16x32_fp8_fp8 v[8:11], a[194:195], a[98:99], v[8:11]// 0000000087B0: D3F30008 1C22C5C2
	v_mfma_f32_16x16x32_fp8_fp8 v[8:11], a[196:197], a[100:101], v[8:11]// 0000000087B8: D3F30008 1C22C9C4
	v_mfma_f32_16x16x32_fp8_fp8 v[8:11], a[198:199], a[102:103], v[8:11]// 0000000087C0: D3F30008 1C22CDC6
	ds_read_b128 a[32:35], v2 offset:2048                      // 0000000087C8: DBFE0800 20000002
	ds_read_b128 a[36:39], v2 offset:2112                      // 0000000087D0: DBFE0840 24000002
	v_fma_f32 v216, v12, v6, v216                              // 0000000087D8: D1CB00D8 07620D0C
	v_fma_f32 v217, v13, v6, v217                              // 0000000087E0: D1CB00D9 07660D0D
	v_fma_f32 v218, v14, v6, v218                              // 0000000087E8: D1CB00DA 076A0D0E
	v_fma_f32 v219, v15, v6, v219                              // 0000000087F0: D1CB00DB 076E0D0F
	v_mfma_f32_16x16x32_fp8_fp8 v[12:15], a[200:201], a[96:97], 0// 0000000087F8: D3F3000C 1A02C1C8
	v_mfma_f32_16x16x32_fp8_fp8 v[12:15], a[202:203], a[98:99], v[12:15]// 000000008800: D3F3000C 1C32C5CA
	v_mfma_f32_16x16x32_fp8_fp8 v[12:15], a[204:205], a[100:101], v[12:15]// 000000008808: D3F3000C 1C32C9CC
	v_mfma_f32_16x16x32_fp8_fp8 v[12:15], a[206:207], a[102:103], v[12:15]// 000000008810: D3F3000C 1C32CDCE
	ds_read_b128 a[40:43], v2 offset:2560                      // 000000008818: DBFE0A00 28000002
	ds_read_b128 a[44:47], v2 offset:2624                      // 000000008820: DBFE0A40 2C000002
	v_fma_f32 v180, v8, v4, v180                               // 000000008828: D1CB00B4 06D20908
	v_fma_f32 v181, v9, v4, v181                               // 000000008830: D1CB00B5 06D60909
	v_fma_f32 v182, v10, v4, v182                              // 000000008838: D1CB00B6 06DA090A
	v_fma_f32 v183, v11, v4, v183                              // 000000008840: D1CB00B7 06DE090B
	v_mul_f32_dpp v6, v29, v63 row_newbcast:0 row_mask:0xf bank_mask:0xf// 000000008848: 0A0C7EFA FF01501D
	v_mfma_f32_16x16x32_fp8_fp8 v[8:11], a[192:193], a[104:105], 0// 000000008850: D3F30008 1A02D1C0
	v_mfma_f32_16x16x32_fp8_fp8 v[8:11], a[194:195], a[106:107], v[8:11]// 000000008858: D3F30008 1C22D5C2
	v_mfma_f32_16x16x32_fp8_fp8 v[8:11], a[196:197], a[108:109], v[8:11]// 000000008860: D3F30008 1C22D9C4
	v_mfma_f32_16x16x32_fp8_fp8 v[8:11], a[198:199], a[110:111], v[8:11]// 000000008868: D3F30008 1C22DDC6
	ds_read_b128 a[48:51], v2 offset:3072                      // 000000008870: DBFE0C00 30000002
	ds_read_b128 a[52:55], v2 offset:3136                      // 000000008878: DBFE0C40 34000002
	v_fma_f32 v220, v12, v4, v220                              // 000000008880: D1CB00DC 0772090C
	v_fma_f32 v221, v13, v4, v221                              // 000000008888: D1CB00DD 0776090D
	v_fma_f32 v222, v14, v4, v222                              // 000000008890: D1CB00DE 077A090E
	v_fma_f32 v223, v15, v4, v223                              // 000000008898: D1CB00DF 077E090F
	v_mfma_f32_16x16x32_fp8_fp8 v[12:15], a[200:201], a[104:105], 0// 0000000088A0: D3F3000C 1A02D1C8
	v_mfma_f32_16x16x32_fp8_fp8 v[12:15], a[202:203], a[106:107], v[12:15]// 0000000088A8: D3F3000C 1C32D5CA
	v_mfma_f32_16x16x32_fp8_fp8 v[12:15], a[204:205], a[108:109], v[12:15]// 0000000088B0: D3F3000C 1C32D9CC
	v_mfma_f32_16x16x32_fp8_fp8 v[12:15], a[206:207], a[110:111], v[12:15]// 0000000088B8: D3F3000C 1C32DDCE
	ds_read_b128 a[56:59], v2 offset:3584                      // 0000000088C0: DBFE0E00 38000002
	ds_read_b128 a[60:63], v2 offset:3648                      // 0000000088C8: DBFE0E40 3C000002
	v_fma_f32 v184, v8, v6, v184                               // 0000000088D0: D1CB00B8 06E20D08
	v_fma_f32 v185, v9, v6, v185                               // 0000000088D8: D1CB00B9 06E60D09
	v_fma_f32 v186, v10, v6, v186                              // 0000000088E0: D1CB00BA 06EA0D0A
	v_fma_f32 v187, v11, v6, v187                              // 0000000088E8: D1CB00BB 06EE0D0B
	v_mul_f32_dpp v4, v29, v64 row_newbcast:0 row_mask:0xf bank_mask:0xf// 0000000088F0: 0A0880FA FF01501D
	v_mfma_f32_16x16x32_fp8_fp8 v[8:11], a[192:193], a[112:113], 0// 0000000088F8: D3F30008 1A02E1C0
	v_mfma_f32_16x16x32_fp8_fp8 v[8:11], a[194:195], a[114:115], v[8:11]// 000000008900: D3F30008 1C22E5C2
	v_mfma_f32_16x16x32_fp8_fp8 v[8:11], a[196:197], a[116:117], v[8:11]// 000000008908: D3F30008 1C22E9C4
	v_mfma_f32_16x16x32_fp8_fp8 v[8:11], a[198:199], a[118:119], v[8:11]// 000000008910: D3F30008 1C22EDC6
	ds_read_b128 a[64:67], v2 offset:4096                      // 000000008918: DBFE1000 40000002
	ds_read_b128 a[68:71], v2 offset:4160                      // 000000008920: DBFE1040 44000002
	v_fma_f32 v224, v12, v6, v224                              // 000000008928: D1CB00E0 07820D0C
	v_fma_f32 v225, v13, v6, v225                              // 000000008930: D1CB00E1 07860D0D
	v_fma_f32 v226, v14, v6, v226                              // 000000008938: D1CB00E2 078A0D0E
	v_fma_f32 v227, v15, v6, v227                              // 000000008940: D1CB00E3 078E0D0F
	v_mfma_f32_16x16x32_fp8_fp8 v[12:15], a[200:201], a[112:113], 0// 000000008948: D3F3000C 1A02E1C8
	v_mfma_f32_16x16x32_fp8_fp8 v[12:15], a[202:203], a[114:115], v[12:15]// 000000008950: D3F3000C 1C32E5CA
	v_mfma_f32_16x16x32_fp8_fp8 v[12:15], a[204:205], a[116:117], v[12:15]// 000000008958: D3F3000C 1C32E9CC
	v_mfma_f32_16x16x32_fp8_fp8 v[12:15], a[206:207], a[118:119], v[12:15]// 000000008960: D3F3000C 1C32EDCE
	ds_read_b128 a[72:75], v2 offset:4608                      // 000000008968: DBFE1200 48000002
	ds_read_b128 a[76:79], v2 offset:4672                      // 000000008970: DBFE1240 4C000002
	v_fma_f32 v188, v8, v4, v188                               // 000000008978: D1CB00BC 06F20908
	v_fma_f32 v189, v9, v4, v189                               // 000000008980: D1CB00BD 06F60909
	v_fma_f32 v190, v10, v4, v190                              // 000000008988: D1CB00BE 06FA090A
	v_fma_f32 v191, v11, v4, v191                              // 000000008990: D1CB00BF 06FE090B
	v_mul_f32_dpp v6, v29, v65 row_newbcast:0 row_mask:0xf bank_mask:0xf// 000000008998: 0A0C82FA FF01501D
	v_mfma_f32_16x16x32_fp8_fp8 v[8:11], a[192:193], a[120:121], 0// 0000000089A0: D3F30008 1A02F1C0
	v_mfma_f32_16x16x32_fp8_fp8 v[8:11], a[194:195], a[122:123], v[8:11]// 0000000089A8: D3F30008 1C22F5C2
	v_mfma_f32_16x16x32_fp8_fp8 v[8:11], a[196:197], a[124:125], v[8:11]// 0000000089B0: D3F30008 1C22F9C4
	v_mfma_f32_16x16x32_fp8_fp8 v[8:11], a[198:199], a[126:127], v[8:11]// 0000000089B8: D3F30008 1C22FDC6
	v_fma_f32 v228, v12, v4, v228                              // 0000000089C0: D1CB00E4 0792090C
	v_fma_f32 v229, v13, v4, v229                              // 0000000089C8: D1CB00E5 0796090D
	v_fma_f32 v230, v14, v4, v230                              // 0000000089D0: D1CB00E6 079A090E
	v_fma_f32 v231, v15, v4, v231                              // 0000000089D8: D1CB00E7 079E090F
	v_mfma_f32_16x16x32_fp8_fp8 v[12:15], a[200:201], a[120:121], 0// 0000000089E0: D3F3000C 1A02F1C8
	v_mfma_f32_16x16x32_fp8_fp8 v[12:15], a[202:203], a[122:123], v[12:15]// 0000000089E8: D3F3000C 1C32F5CA
	v_mfma_f32_16x16x32_fp8_fp8 v[12:15], a[204:205], a[124:125], v[12:15]// 0000000089F0: D3F3000C 1C32F9CC
	v_mfma_f32_16x16x32_fp8_fp8 v[12:15], a[206:207], a[126:127], v[12:15]// 0000000089F8: D3F3000C 1C32FDCE
	v_fma_f32 v192, v8, v6, v192                               // 000000008A00: D1CB00C0 07020D08
	v_fma_f32 v193, v9, v6, v193                               // 000000008A08: D1CB00C1 07060D09
	v_fma_f32 v194, v10, v6, v194                              // 000000008A10: D1CB00C2 070A0D0A
	v_fma_f32 v195, v11, v6, v195                              // 000000008A18: D1CB00C3 070E0D0B
	v_mul_f32_dpp v4, v29, v66 row_newbcast:0 row_mask:0xf bank_mask:0xf// 000000008A20: 0A0884FA FF01501D
	v_mfma_f32_16x16x32_fp8_fp8 v[8:11], a[192:193], a[128:129], 0// 000000008A28: D3F30008 1A0301C0
	v_mfma_f32_16x16x32_fp8_fp8 v[8:11], a[194:195], a[130:131], v[8:11]// 000000008A30: D3F30008 1C2305C2
	v_mfma_f32_16x16x32_fp8_fp8 v[8:11], a[196:197], a[132:133], v[8:11]// 000000008A38: D3F30008 1C2309C4
	v_mfma_f32_16x16x32_fp8_fp8 v[8:11], a[198:199], a[134:135], v[8:11]// 000000008A40: D3F30008 1C230DC6
	v_fma_f32 v232, v12, v6, v232                              // 000000008A48: D1CB00E8 07A20D0C
	v_fma_f32 v233, v13, v6, v233                              // 000000008A50: D1CB00E9 07A60D0D
	v_fma_f32 v234, v14, v6, v234                              // 000000008A58: D1CB00EA 07AA0D0E
	v_fma_f32 v235, v15, v6, v235                              // 000000008A60: D1CB00EB 07AE0D0F
	v_mfma_f32_16x16x32_fp8_fp8 v[12:15], a[200:201], a[128:129], 0// 000000008A68: D3F3000C 1A0301C8
	v_mfma_f32_16x16x32_fp8_fp8 v[12:15], a[202:203], a[130:131], v[12:15]// 000000008A70: D3F3000C 1C3305CA
	v_mfma_f32_16x16x32_fp8_fp8 v[12:15], a[204:205], a[132:133], v[12:15]// 000000008A78: D3F3000C 1C3309CC
	v_mfma_f32_16x16x32_fp8_fp8 v[12:15], a[206:207], a[134:135], v[12:15]// 000000008A80: D3F3000C 1C330DCE
	v_fma_f32 v196, v8, v4, v196                               // 000000008A88: D1CB00C4 07120908
	v_fma_f32 v197, v9, v4, v197                               // 000000008A90: D1CB00C5 07160909
	v_fma_f32 v198, v10, v4, v198                              // 000000008A98: D1CB00C6 071A090A
	v_fma_f32 v199, v11, v4, v199                              // 000000008AA0: D1CB00C7 071E090B
	v_mul_f32_dpp v6, v29, v67 row_newbcast:0 row_mask:0xf bank_mask:0xf// 000000008AA8: 0A0C86FA FF01501D
	v_mfma_f32_16x16x32_fp8_fp8 v[8:11], a[192:193], a[136:137], 0// 000000008AB0: D3F30008 1A0311C0
	v_mfma_f32_16x16x32_fp8_fp8 v[8:11], a[194:195], a[138:139], v[8:11]// 000000008AB8: D3F30008 1C2315C2
	v_mfma_f32_16x16x32_fp8_fp8 v[8:11], a[196:197], a[140:141], v[8:11]// 000000008AC0: D3F30008 1C2319C4
	v_mfma_f32_16x16x32_fp8_fp8 v[8:11], a[198:199], a[142:143], v[8:11]// 000000008AC8: D3F30008 1C231DC6
	v_fma_f32 v236, v12, v4, v236                              // 000000008AD0: D1CB00EC 07B2090C
	v_fma_f32 v237, v13, v4, v237                              // 000000008AD8: D1CB00ED 07B6090D
	v_fma_f32 v238, v14, v4, v238                              // 000000008AE0: D1CB00EE 07BA090E
	v_fma_f32 v239, v15, v4, v239                              // 000000008AE8: D1CB00EF 07BE090F
	v_mfma_f32_16x16x32_fp8_fp8 v[12:15], a[200:201], a[136:137], 0// 000000008AF0: D3F3000C 1A0311C8
	v_mfma_f32_16x16x32_fp8_fp8 v[12:15], a[202:203], a[138:139], v[12:15]// 000000008AF8: D3F3000C 1C3315CA
	v_mfma_f32_16x16x32_fp8_fp8 v[12:15], a[204:205], a[140:141], v[12:15]// 000000008B00: D3F3000C 1C3319CC
	v_mfma_f32_16x16x32_fp8_fp8 v[12:15], a[206:207], a[142:143], v[12:15]// 000000008B08: D3F3000C 1C331DCE
	v_fma_f32 v200, v8, v6, v200                               // 000000008B10: D1CB00C8 07220D08
	v_fma_f32 v201, v9, v6, v201                               // 000000008B18: D1CB00C9 07260D09
	v_fma_f32 v202, v10, v6, v202                              // 000000008B20: D1CB00CA 072A0D0A
	v_fma_f32 v203, v11, v6, v203                              // 000000008B28: D1CB00CB 072E0D0B
	v_mul_f32_dpp v4, v29, v68 row_newbcast:0 row_mask:0xf bank_mask:0xf// 000000008B30: 0A0888FA FF01501D
	v_mfma_f32_16x16x32_fp8_fp8 v[8:11], a[192:193], a[144:145], 0// 000000008B38: D3F30008 1A0321C0
	v_mfma_f32_16x16x32_fp8_fp8 v[8:11], a[194:195], a[146:147], v[8:11]// 000000008B40: D3F30008 1C2325C2
	v_mfma_f32_16x16x32_fp8_fp8 v[8:11], a[196:197], a[148:149], v[8:11]// 000000008B48: D3F30008 1C2329C4
	v_mfma_f32_16x16x32_fp8_fp8 v[8:11], a[198:199], a[150:151], v[8:11]// 000000008B50: D3F30008 1C232DC6
	v_fma_f32 v240, v12, v6, v240                              // 000000008B58: D1CB00F0 07C20D0C
	v_fma_f32 v241, v13, v6, v241                              // 000000008B60: D1CB00F1 07C60D0D
	v_fma_f32 v242, v14, v6, v242                              // 000000008B68: D1CB00F2 07CA0D0E
	v_fma_f32 v243, v15, v6, v243                              // 000000008B70: D1CB00F3 07CE0D0F
	v_mfma_f32_16x16x32_fp8_fp8 v[12:15], a[200:201], a[144:145], 0// 000000008B78: D3F3000C 1A0321C8
	v_mfma_f32_16x16x32_fp8_fp8 v[12:15], a[202:203], a[146:147], v[12:15]// 000000008B80: D3F3000C 1C3325CA
	v_mfma_f32_16x16x32_fp8_fp8 v[12:15], a[204:205], a[148:149], v[12:15]// 000000008B88: D3F3000C 1C3329CC
	v_mfma_f32_16x16x32_fp8_fp8 v[12:15], a[206:207], a[150:151], v[12:15]// 000000008B90: D3F3000C 1C332DCE
	v_fma_f32 v204, v8, v4, v204                               // 000000008B98: D1CB00CC 07320908
	v_fma_f32 v205, v9, v4, v205                               // 000000008BA0: D1CB00CD 07360909
	v_fma_f32 v206, v10, v4, v206                              // 000000008BA8: D1CB00CE 073A090A
	v_fma_f32 v207, v11, v4, v207                              // 000000008BB0: D1CB00CF 073E090B
	v_mul_f32_dpp v6, v29, v69 row_newbcast:0 row_mask:0xf bank_mask:0xf// 000000008BB8: 0A0C8AFA FF01501D
	v_mfma_f32_16x16x32_fp8_fp8 v[8:11], a[192:193], a[152:153], 0// 000000008BC0: D3F30008 1A0331C0
	s_add_u32 s60, 0x180, s80                                  // 000000008BC8: 803C50FF 00000180
	s_cmp_lt_u32 s60, s81                                      // 000000008BD0: BF0A513C
	s_cselect_b32 s57, s57, 0                                  // 000000008BD4: 85398039
	s_cselect_b32 s3, s3, 0                                    // 000000008BD8: 85038003
	v_mfma_f32_16x16x32_fp8_fp8 v[8:11], a[194:195], a[154:155], v[8:11]// 000000008BDC: D3F30008 1C2335C2
	s_add_u32 s60, 0x100, s80                                  // 000000008BE4: 803C50FF 00000100
	s_cmp_lt_u32 s60, s81                                      // 000000008BEC: BF0A513C
	s_cselect_b32 s58, s58, 0                                  // 000000008BF0: 853A803A
	v_mfma_f32_16x16x32_fp8_fp8 v[8:11], a[196:197], a[156:157], v[8:11]// 000000008BF4: D3F30008 1C2339C4
	s_add_u32 s60, 0x100, s80                                  // 000000008BFC: 803C50FF 00000100
	s_cmp_lt_u32 s60, s81                                      // 000000008C04: BF0A513C
	s_cselect_b32 s83, s83, 0                                  // 000000008C08: 85538053
	s_cselect_b32 s4, s4, 0                                    // 000000008C0C: 85048004
	v_mfma_f32_16x16x32_fp8_fp8 v[8:11], a[198:199], a[158:159], v[8:11]// 000000008C10: D3F30008 1C233DC6
	s_add_u32 s24, s58, s24                                    // 000000008C18: 8018183A
	s_addc_u32 s25, 0, s25                                     // 000000008C1C: 82191980
	v_fma_f32 v244, v12, v4, v244                              // 000000008C20: D1CB00F4 07D2090C
	v_fma_f32 v245, v13, v4, v245                              // 000000008C28: D1CB00F5 07D6090D
	v_fma_f32 v246, v14, v4, v246                              // 000000008C30: D1CB00F6 07DA090E
	v_fma_f32 v247, v15, v4, v247                              // 000000008C38: D1CB00F7 07DE090F
	v_mfma_f32_16x16x32_fp8_fp8 v[12:15], a[200:201], a[152:153], 0// 000000008C40: D3F3000C 1A0331C8
	s_add_u32 s20, s57, s20                                    // 000000008C48: 80141439
	s_addc_u32 s21, 0, s21                                     // 000000008C4C: 82151580
	s_add_u32 s28, s3, s28                                     // 000000008C50: 801C1C03
	s_addc_u32 s29, 0, s29                                     // 000000008C54: 821D1D80
	v_mfma_f32_16x16x32_fp8_fp8 v[12:15], a[202:203], a[154:155], v[12:15]// 000000008C58: D3F3000C 1C3335CA
	s_add_u32 s84, s83, s84                                    // 000000008C60: 80545453
	s_addc_u32 s85, 0, s85                                     // 000000008C64: 82555580
	v_mfma_f32_16x16x32_fp8_fp8 v[12:15], a[204:205], a[156:157], v[12:15]// 000000008C68: D3F3000C 1C3339CC
	s_add_u32 s32, s4, s32                                     // 000000008C70: 80202004
	s_addc_u32 s33, 0, s33                                     // 000000008C74: 82212180
	v_mfma_f32_16x16x32_fp8_fp8 v[12:15], a[206:207], a[158:159], v[12:15]// 000000008C78: D3F3000C 1C333DCE
	v_fma_f32 v208, v8, v6, v208                               // 000000008C80: D1CB00D0 07420D08
	v_fma_f32 v209, v9, v6, v209                               // 000000008C88: D1CB00D1 07460D09
	v_fma_f32 v210, v10, v6, v210                              // 000000008C90: D1CB00D2 074A0D0A
	v_fma_f32 v211, v11, v6, v211                              // 000000008C98: D1CB00D3 074E0D0B
	v_fma_f32 v248, v12, v6, v248                              // 000000008CA0: D1CB00F8 07E20D0C
	v_fma_f32 v249, v13, v6, v249                              // 000000008CA8: D1CB00F9 07E60D0D
	v_fma_f32 v250, v14, v6, v250                              // 000000008CB0: D1CB00FA 07EA0D0E
	v_fma_f32 v251, v15, v6, v251                              // 000000008CB8: D1CB00FB 07EE0D0F
	s_addk_i32 s80, 0x80                                       // 000000008CC0: B7500080
	s_cmp_lt_i32 s80, s81                                      // 000000008CC4: BF045150
	s_cbranch_scc0 label_18B4                                  // 000000008CC8: BF840001
	s_branch label_0455                                        // 000000008CCC: BF82EBA1

0000000000008cd0 <label_18B4>:
	s_cmp_eq_u32 s88, 0                                        // 000000008CD0: BF068058
	s_cbranch_scc0 label_2603                                  // 000000008CD4: BF840D4D
	s_cmp_eq_u32 s89, 0                                        // 000000008CD8: BF068059
	s_cbranch_scc1 label_1BDD                                  // 000000008CDC: BF850325
	v_mov_b32_e32 v8, v1                                       // 000000008CE0: 7E100301
	v_mov_b32_e32 v9, v1                                       // 000000008CE4: 7E120301
	s_mov_b32 s60, s6                                          // 000000008CE8: BEBC0006
	s_mov_b32 s61, s6                                          // 000000008CEC: BEBD0006
	v_pk_mul_f32 v[4:5], v[92:93], v[92:93]                    // 000000008CF0: D3B14004 1802B95C
	v_pk_mul_f32 v[6:7], v[94:95], v[94:95]                    // 000000008CF8: D3B14006 1802BD5E
	v_pk_fma_f32 v[4:5], v[4:5], s[78:79], v[8:9]              // 000000008D00: D3B04004 1C209D04
	v_pk_fma_f32 v[6:7], v[6:7], s[78:79], v[8:9]              // 000000008D08: D3B04006 1C209D06
	v_pk_mul_f32 v[4:5], v[4:5], v[92:93]                      // 000000008D10: D3B14004 1802B904
	v_pk_mul_f32 v[6:7], v[6:7], v[94:95]                      // 000000008D18: D3B14006 1802BD06
	v_pk_mul_f32 v[4:5], v[4:5], s[60:61]                      // 000000008D20: D3B14004 18007904
	v_pk_mul_f32 v[6:7], v[6:7], s[60:61]                      // 000000008D28: D3B14006 18007906
	v_exp_f32_e32 v4, v4                                       // 000000008D30: 7E084104
	v_exp_f32_e32 v5, v5                                       // 000000008D34: 7E0A4105
	v_exp_f32_e32 v6, v6                                       // 000000008D38: 7E0C4106
	v_exp_f32_e32 v7, v7                                       // 000000008D3C: 7E0E4107
	v_add_f32_e64 v4, v4, 1.0                                  // 000000008D40: D1010004 0001E504
	v_add_f32_e64 v5, v5, 1.0                                  // 000000008D48: D1010005 0001E505
	v_add_f32_e64 v6, v6, 1.0                                  // 000000008D50: D1010006 0001E506
	v_add_f32_e64 v7, v7, 1.0                                  // 000000008D58: D1010007 0001E507
	v_rcp_f32_e32 v4, v4                                       // 000000008D60: 7E084504
	v_rcp_f32_e32 v5, v5                                       // 000000008D64: 7E0A4505
	v_rcp_f32_e32 v6, v6                                       // 000000008D68: 7E0C4506
	v_rcp_f32_e32 v7, v7                                       // 000000008D6C: 7E0E4507
	v_mul_f32_e32 v92, v92, v4                                 // 000000008D70: 0AB8095C
	v_mul_f32_e32 v93, v93, v5                                 // 000000008D74: 0ABA0B5D
	v_mul_f32_e32 v94, v94, v6                                 // 000000008D78: 0ABC0D5E
	v_mul_f32_e32 v95, v95, v7                                 // 000000008D7C: 0ABE0F5F
	v_mul_f32_e32 v92, v92, v172                               // 000000008D80: 0AB9595C
	v_mul_f32_e32 v93, v93, v173                               // 000000008D84: 0ABB5B5D
	v_mul_f32_e32 v94, v94, v174                               // 000000008D88: 0ABD5D5E
	v_mul_f32_e32 v95, v95, v175                               // 000000008D8C: 0ABF5F5F
	v_pk_mul_f32 v[4:5], v[96:97], v[96:97]                    // 000000008D90: D3B14004 1802C160
	v_pk_mul_f32 v[6:7], v[98:99], v[98:99]                    // 000000008D98: D3B14006 1802C562
	v_pk_fma_f32 v[4:5], v[4:5], s[78:79], v[8:9]              // 000000008DA0: D3B04004 1C209D04
	v_pk_fma_f32 v[6:7], v[6:7], s[78:79], v[8:9]              // 000000008DA8: D3B04006 1C209D06
	v_pk_mul_f32 v[4:5], v[4:5], v[96:97]                      // 000000008DB0: D3B14004 1802C104
	v_pk_mul_f32 v[6:7], v[6:7], v[98:99]                      // 000000008DB8: D3B14006 1802C506
	v_pk_mul_f32 v[4:5], v[4:5], s[60:61]                      // 000000008DC0: D3B14004 18007904
	v_pk_mul_f32 v[6:7], v[6:7], s[60:61]                      // 000000008DC8: D3B14006 18007906
	v_exp_f32_e32 v4, v4                                       // 000000008DD0: 7E084104
	v_exp_f32_e32 v5, v5                                       // 000000008DD4: 7E0A4105
	v_exp_f32_e32 v6, v6                                       // 000000008DD8: 7E0C4106
	v_exp_f32_e32 v7, v7                                       // 000000008DDC: 7E0E4107
	v_add_f32_e64 v4, v4, 1.0                                  // 000000008DE0: D1010004 0001E504
	v_add_f32_e64 v5, v5, 1.0                                  // 000000008DE8: D1010005 0001E505
	v_add_f32_e64 v6, v6, 1.0                                  // 000000008DF0: D1010006 0001E506
	v_add_f32_e64 v7, v7, 1.0                                  // 000000008DF8: D1010007 0001E507
	v_rcp_f32_e32 v4, v4                                       // 000000008E00: 7E084504
	v_rcp_f32_e32 v5, v5                                       // 000000008E04: 7E0A4505
	v_rcp_f32_e32 v6, v6                                       // 000000008E08: 7E0C4506
	v_rcp_f32_e32 v7, v7                                       // 000000008E0C: 7E0E4507
	v_mul_f32_e32 v96, v96, v4                                 // 000000008E10: 0AC00960
	v_mul_f32_e32 v97, v97, v5                                 // 000000008E14: 0AC20B61
	v_mul_f32_e32 v98, v98, v6                                 // 000000008E18: 0AC40D62
	v_mul_f32_e32 v99, v99, v7                                 // 000000008E1C: 0AC60F63
	v_mul_f32_e32 v96, v96, v176                               // 000000008E20: 0AC16160
	v_mul_f32_e32 v97, v97, v177                               // 000000008E24: 0AC36361
	v_mul_f32_e32 v98, v98, v178                               // 000000008E28: 0AC56562
	v_mul_f32_e32 v99, v99, v179                               // 000000008E2C: 0AC76763
	v_pk_mul_f32 v[4:5], v[100:101], v[100:101]                // 000000008E30: D3B14004 1802C964
	v_pk_mul_f32 v[6:7], v[102:103], v[102:103]                // 000000008E38: D3B14006 1802CD66
	v_pk_fma_f32 v[4:5], v[4:5], s[78:79], v[8:9]              // 000000008E40: D3B04004 1C209D04
	v_pk_fma_f32 v[6:7], v[6:7], s[78:79], v[8:9]              // 000000008E48: D3B04006 1C209D06
	v_pk_mul_f32 v[4:5], v[4:5], v[100:101]                    // 000000008E50: D3B14004 1802C904
	v_pk_mul_f32 v[6:7], v[6:7], v[102:103]                    // 000000008E58: D3B14006 1802CD06
	v_pk_mul_f32 v[4:5], v[4:5], s[60:61]                      // 000000008E60: D3B14004 18007904
	v_pk_mul_f32 v[6:7], v[6:7], s[60:61]                      // 000000008E68: D3B14006 18007906
	v_exp_f32_e32 v4, v4                                       // 000000008E70: 7E084104
	v_exp_f32_e32 v5, v5                                       // 000000008E74: 7E0A4105
	v_exp_f32_e32 v6, v6                                       // 000000008E78: 7E0C4106
	v_exp_f32_e32 v7, v7                                       // 000000008E7C: 7E0E4107
	v_add_f32_e64 v4, v4, 1.0                                  // 000000008E80: D1010004 0001E504
	v_add_f32_e64 v5, v5, 1.0                                  // 000000008E88: D1010005 0001E505
	v_add_f32_e64 v6, v6, 1.0                                  // 000000008E90: D1010006 0001E506
	v_add_f32_e64 v7, v7, 1.0                                  // 000000008E98: D1010007 0001E507
	v_rcp_f32_e32 v4, v4                                       // 000000008EA0: 7E084504
	v_rcp_f32_e32 v5, v5                                       // 000000008EA4: 7E0A4505
	v_rcp_f32_e32 v6, v6                                       // 000000008EA8: 7E0C4506
	v_rcp_f32_e32 v7, v7                                       // 000000008EAC: 7E0E4507
	v_mul_f32_e32 v100, v100, v4                               // 000000008EB0: 0AC80964
	v_mul_f32_e32 v101, v101, v5                               // 000000008EB4: 0ACA0B65
	v_mul_f32_e32 v102, v102, v6                               // 000000008EB8: 0ACC0D66
	v_mul_f32_e32 v103, v103, v7                               // 000000008EBC: 0ACE0F67
	v_mul_f32_e32 v100, v100, v180                             // 000000008EC0: 0AC96964
	v_mul_f32_e32 v101, v101, v181                             // 000000008EC4: 0ACB6B65
	v_mul_f32_e32 v102, v102, v182                             // 000000008EC8: 0ACD6D66
	v_mul_f32_e32 v103, v103, v183                             // 000000008ECC: 0ACF6F67
	v_pk_mul_f32 v[4:5], v[104:105], v[104:105]                // 000000008ED0: D3B14004 1802D168
	v_pk_mul_f32 v[6:7], v[106:107], v[106:107]                // 000000008ED8: D3B14006 1802D56A
	v_pk_fma_f32 v[4:5], v[4:5], s[78:79], v[8:9]              // 000000008EE0: D3B04004 1C209D04
	v_pk_fma_f32 v[6:7], v[6:7], s[78:79], v[8:9]              // 000000008EE8: D3B04006 1C209D06
	v_pk_mul_f32 v[4:5], v[4:5], v[104:105]                    // 000000008EF0: D3B14004 1802D104
	v_pk_mul_f32 v[6:7], v[6:7], v[106:107]                    // 000000008EF8: D3B14006 1802D506
	v_pk_mul_f32 v[4:5], v[4:5], s[60:61]                      // 000000008F00: D3B14004 18007904
	v_pk_mul_f32 v[6:7], v[6:7], s[60:61]                      // 000000008F08: D3B14006 18007906
	v_exp_f32_e32 v4, v4                                       // 000000008F10: 7E084104
	v_exp_f32_e32 v5, v5                                       // 000000008F14: 7E0A4105
	v_exp_f32_e32 v6, v6                                       // 000000008F18: 7E0C4106
	v_exp_f32_e32 v7, v7                                       // 000000008F1C: 7E0E4107
	v_add_f32_e64 v4, v4, 1.0                                  // 000000008F20: D1010004 0001E504
	v_add_f32_e64 v5, v5, 1.0                                  // 000000008F28: D1010005 0001E505
	v_add_f32_e64 v6, v6, 1.0                                  // 000000008F30: D1010006 0001E506
	v_add_f32_e64 v7, v7, 1.0                                  // 000000008F38: D1010007 0001E507
	v_rcp_f32_e32 v4, v4                                       // 000000008F40: 7E084504
	v_rcp_f32_e32 v5, v5                                       // 000000008F44: 7E0A4505
	v_rcp_f32_e32 v6, v6                                       // 000000008F48: 7E0C4506
	v_rcp_f32_e32 v7, v7                                       // 000000008F4C: 7E0E4507
	v_mul_f32_e32 v104, v104, v4                               // 000000008F50: 0AD00968
	v_mul_f32_e32 v105, v105, v5                               // 000000008F54: 0AD20B69
	v_mul_f32_e32 v106, v106, v6                               // 000000008F58: 0AD40D6A
	v_mul_f32_e32 v107, v107, v7                               // 000000008F5C: 0AD60F6B
	v_mul_f32_e32 v104, v104, v184                             // 000000008F60: 0AD17168
	v_mul_f32_e32 v105, v105, v185                             // 000000008F64: 0AD37369
	v_mul_f32_e32 v106, v106, v186                             // 000000008F68: 0AD5756A
	v_mul_f32_e32 v107, v107, v187                             // 000000008F6C: 0AD7776B
	v_pk_mul_f32 v[4:5], v[108:109], v[108:109]                // 000000008F70: D3B14004 1802D96C
	v_pk_mul_f32 v[6:7], v[110:111], v[110:111]                // 000000008F78: D3B14006 1802DD6E
	v_pk_fma_f32 v[4:5], v[4:5], s[78:79], v[8:9]              // 000000008F80: D3B04004 1C209D04
	v_pk_fma_f32 v[6:7], v[6:7], s[78:79], v[8:9]              // 000000008F88: D3B04006 1C209D06
	v_pk_mul_f32 v[4:5], v[4:5], v[108:109]                    // 000000008F90: D3B14004 1802D904
	v_pk_mul_f32 v[6:7], v[6:7], v[110:111]                    // 000000008F98: D3B14006 1802DD06
	v_pk_mul_f32 v[4:5], v[4:5], s[60:61]                      // 000000008FA0: D3B14004 18007904
	v_pk_mul_f32 v[6:7], v[6:7], s[60:61]                      // 000000008FA8: D3B14006 18007906
	v_exp_f32_e32 v4, v4                                       // 000000008FB0: 7E084104
	v_exp_f32_e32 v5, v5                                       // 000000008FB4: 7E0A4105
	v_exp_f32_e32 v6, v6                                       // 000000008FB8: 7E0C4106
	v_exp_f32_e32 v7, v7                                       // 000000008FBC: 7E0E4107
	v_add_f32_e64 v4, v4, 1.0                                  // 000000008FC0: D1010004 0001E504
	v_add_f32_e64 v5, v5, 1.0                                  // 000000008FC8: D1010005 0001E505
	v_add_f32_e64 v6, v6, 1.0                                  // 000000008FD0: D1010006 0001E506
	v_add_f32_e64 v7, v7, 1.0                                  // 000000008FD8: D1010007 0001E507
	v_rcp_f32_e32 v4, v4                                       // 000000008FE0: 7E084504
	v_rcp_f32_e32 v5, v5                                       // 000000008FE4: 7E0A4505
	v_rcp_f32_e32 v6, v6                                       // 000000008FE8: 7E0C4506
	v_rcp_f32_e32 v7, v7                                       // 000000008FEC: 7E0E4507
	v_mul_f32_e32 v108, v108, v4                               // 000000008FF0: 0AD8096C
	v_mul_f32_e32 v109, v109, v5                               // 000000008FF4: 0ADA0B6D
	v_mul_f32_e32 v110, v110, v6                               // 000000008FF8: 0ADC0D6E
	v_mul_f32_e32 v111, v111, v7                               // 000000008FFC: 0ADE0F6F
	v_mul_f32_e32 v108, v108, v188                             // 000000009000: 0AD9796C
	v_mul_f32_e32 v109, v109, v189                             // 000000009004: 0ADB7B6D
	v_mul_f32_e32 v110, v110, v190                             // 000000009008: 0ADD7D6E
	v_mul_f32_e32 v111, v111, v191                             // 00000000900C: 0ADF7F6F
	v_pk_mul_f32 v[4:5], v[112:113], v[112:113]                // 000000009010: D3B14004 1802E170
	v_pk_mul_f32 v[6:7], v[114:115], v[114:115]                // 000000009018: D3B14006 1802E572
	v_pk_fma_f32 v[4:5], v[4:5], s[78:79], v[8:9]              // 000000009020: D3B04004 1C209D04
	v_pk_fma_f32 v[6:7], v[6:7], s[78:79], v[8:9]              // 000000009028: D3B04006 1C209D06
	v_pk_mul_f32 v[4:5], v[4:5], v[112:113]                    // 000000009030: D3B14004 1802E104
	v_pk_mul_f32 v[6:7], v[6:7], v[114:115]                    // 000000009038: D3B14006 1802E506
	v_pk_mul_f32 v[4:5], v[4:5], s[60:61]                      // 000000009040: D3B14004 18007904
	v_pk_mul_f32 v[6:7], v[6:7], s[60:61]                      // 000000009048: D3B14006 18007906
	v_exp_f32_e32 v4, v4                                       // 000000009050: 7E084104
	v_exp_f32_e32 v5, v5                                       // 000000009054: 7E0A4105
	v_exp_f32_e32 v6, v6                                       // 000000009058: 7E0C4106
	v_exp_f32_e32 v7, v7                                       // 00000000905C: 7E0E4107
	v_add_f32_e64 v4, v4, 1.0                                  // 000000009060: D1010004 0001E504
	v_add_f32_e64 v5, v5, 1.0                                  // 000000009068: D1010005 0001E505
	v_add_f32_e64 v6, v6, 1.0                                  // 000000009070: D1010006 0001E506
	v_add_f32_e64 v7, v7, 1.0                                  // 000000009078: D1010007 0001E507
	v_rcp_f32_e32 v4, v4                                       // 000000009080: 7E084504
	v_rcp_f32_e32 v5, v5                                       // 000000009084: 7E0A4505
	v_rcp_f32_e32 v6, v6                                       // 000000009088: 7E0C4506
	v_rcp_f32_e32 v7, v7                                       // 00000000908C: 7E0E4507
	v_mul_f32_e32 v112, v112, v4                               // 000000009090: 0AE00970
	v_mul_f32_e32 v113, v113, v5                               // 000000009094: 0AE20B71
	v_mul_f32_e32 v114, v114, v6                               // 000000009098: 0AE40D72
	v_mul_f32_e32 v115, v115, v7                               // 00000000909C: 0AE60F73
	v_mul_f32_e32 v112, v112, v192                             // 0000000090A0: 0AE18170
	v_mul_f32_e32 v113, v113, v193                             // 0000000090A4: 0AE38371
	v_mul_f32_e32 v114, v114, v194                             // 0000000090A8: 0AE58572
	v_mul_f32_e32 v115, v115, v195                             // 0000000090AC: 0AE78773
	v_pk_mul_f32 v[4:5], v[116:117], v[116:117]                // 0000000090B0: D3B14004 1802E974
	v_pk_mul_f32 v[6:7], v[118:119], v[118:119]                // 0000000090B8: D3B14006 1802ED76
	v_pk_fma_f32 v[4:5], v[4:5], s[78:79], v[8:9]              // 0000000090C0: D3B04004 1C209D04
	v_pk_fma_f32 v[6:7], v[6:7], s[78:79], v[8:9]              // 0000000090C8: D3B04006 1C209D06
	v_pk_mul_f32 v[4:5], v[4:5], v[116:117]                    // 0000000090D0: D3B14004 1802E904
	v_pk_mul_f32 v[6:7], v[6:7], v[118:119]                    // 0000000090D8: D3B14006 1802ED06
	v_pk_mul_f32 v[4:5], v[4:5], s[60:61]                      // 0000000090E0: D3B14004 18007904
	v_pk_mul_f32 v[6:7], v[6:7], s[60:61]                      // 0000000090E8: D3B14006 18007906
	v_exp_f32_e32 v4, v4                                       // 0000000090F0: 7E084104
	v_exp_f32_e32 v5, v5                                       // 0000000090F4: 7E0A4105
	v_exp_f32_e32 v6, v6                                       // 0000000090F8: 7E0C4106
	v_exp_f32_e32 v7, v7                                       // 0000000090FC: 7E0E4107
	v_add_f32_e64 v4, v4, 1.0                                  // 000000009100: D1010004 0001E504
	v_add_f32_e64 v5, v5, 1.0                                  // 000000009108: D1010005 0001E505
	v_add_f32_e64 v6, v6, 1.0                                  // 000000009110: D1010006 0001E506
	v_add_f32_e64 v7, v7, 1.0                                  // 000000009118: D1010007 0001E507
	v_rcp_f32_e32 v4, v4                                       // 000000009120: 7E084504
	v_rcp_f32_e32 v5, v5                                       // 000000009124: 7E0A4505
	v_rcp_f32_e32 v6, v6                                       // 000000009128: 7E0C4506
	v_rcp_f32_e32 v7, v7                                       // 00000000912C: 7E0E4507
	v_mul_f32_e32 v116, v116, v4                               // 000000009130: 0AE80974
	v_mul_f32_e32 v117, v117, v5                               // 000000009134: 0AEA0B75
	v_mul_f32_e32 v118, v118, v6                               // 000000009138: 0AEC0D76
	v_mul_f32_e32 v119, v119, v7                               // 00000000913C: 0AEE0F77
	v_mul_f32_e32 v116, v116, v196                             // 000000009140: 0AE98974
	v_mul_f32_e32 v117, v117, v197                             // 000000009144: 0AEB8B75
	v_mul_f32_e32 v118, v118, v198                             // 000000009148: 0AED8D76
	v_mul_f32_e32 v119, v119, v199                             // 00000000914C: 0AEF8F77
	v_pk_mul_f32 v[4:5], v[120:121], v[120:121]                // 000000009150: D3B14004 1802F178
	v_pk_mul_f32 v[6:7], v[122:123], v[122:123]                // 000000009158: D3B14006 1802F57A
	v_pk_fma_f32 v[4:5], v[4:5], s[78:79], v[8:9]              // 000000009160: D3B04004 1C209D04
	v_pk_fma_f32 v[6:7], v[6:7], s[78:79], v[8:9]              // 000000009168: D3B04006 1C209D06
	v_pk_mul_f32 v[4:5], v[4:5], v[120:121]                    // 000000009170: D3B14004 1802F104
	v_pk_mul_f32 v[6:7], v[6:7], v[122:123]                    // 000000009178: D3B14006 1802F506
	v_pk_mul_f32 v[4:5], v[4:5], s[60:61]                      // 000000009180: D3B14004 18007904
	v_pk_mul_f32 v[6:7], v[6:7], s[60:61]                      // 000000009188: D3B14006 18007906
	v_exp_f32_e32 v4, v4                                       // 000000009190: 7E084104
	v_exp_f32_e32 v5, v5                                       // 000000009194: 7E0A4105
	v_exp_f32_e32 v6, v6                                       // 000000009198: 7E0C4106
	v_exp_f32_e32 v7, v7                                       // 00000000919C: 7E0E4107
	v_add_f32_e64 v4, v4, 1.0                                  // 0000000091A0: D1010004 0001E504
	v_add_f32_e64 v5, v5, 1.0                                  // 0000000091A8: D1010005 0001E505
	v_add_f32_e64 v6, v6, 1.0                                  // 0000000091B0: D1010006 0001E506
	v_add_f32_e64 v7, v7, 1.0                                  // 0000000091B8: D1010007 0001E507
	v_rcp_f32_e32 v4, v4                                       // 0000000091C0: 7E084504
	v_rcp_f32_e32 v5, v5                                       // 0000000091C4: 7E0A4505
	v_rcp_f32_e32 v6, v6                                       // 0000000091C8: 7E0C4506
	v_rcp_f32_e32 v7, v7                                       // 0000000091CC: 7E0E4507
	v_mul_f32_e32 v120, v120, v4                               // 0000000091D0: 0AF00978
	v_mul_f32_e32 v121, v121, v5                               // 0000000091D4: 0AF20B79
	v_mul_f32_e32 v122, v122, v6                               // 0000000091D8: 0AF40D7A
	v_mul_f32_e32 v123, v123, v7                               // 0000000091DC: 0AF60F7B
	v_mul_f32_e32 v120, v120, v200                             // 0000000091E0: 0AF19178
	v_mul_f32_e32 v121, v121, v201                             // 0000000091E4: 0AF39379
	v_mul_f32_e32 v122, v122, v202                             // 0000000091E8: 0AF5957A
	v_mul_f32_e32 v123, v123, v203                             // 0000000091EC: 0AF7977B
	v_pk_mul_f32 v[4:5], v[124:125], v[124:125]                // 0000000091F0: D3B14004 1802F97C
	v_pk_mul_f32 v[6:7], v[126:127], v[126:127]                // 0000000091F8: D3B14006 1802FD7E
	v_pk_fma_f32 v[4:5], v[4:5], s[78:79], v[8:9]              // 000000009200: D3B04004 1C209D04
	v_pk_fma_f32 v[6:7], v[6:7], s[78:79], v[8:9]              // 000000009208: D3B04006 1C209D06
	v_pk_mul_f32 v[4:5], v[4:5], v[124:125]                    // 000000009210: D3B14004 1802F904
	v_pk_mul_f32 v[6:7], v[6:7], v[126:127]                    // 000000009218: D3B14006 1802FD06
	v_pk_mul_f32 v[4:5], v[4:5], s[60:61]                      // 000000009220: D3B14004 18007904
	v_pk_mul_f32 v[6:7], v[6:7], s[60:61]                      // 000000009228: D3B14006 18007906
	v_exp_f32_e32 v4, v4                                       // 000000009230: 7E084104
	v_exp_f32_e32 v5, v5                                       // 000000009234: 7E0A4105
	v_exp_f32_e32 v6, v6                                       // 000000009238: 7E0C4106
	v_exp_f32_e32 v7, v7                                       // 00000000923C: 7E0E4107
	v_add_f32_e64 v4, v4, 1.0                                  // 000000009240: D1010004 0001E504
	v_add_f32_e64 v5, v5, 1.0                                  // 000000009248: D1010005 0001E505
	v_add_f32_e64 v6, v6, 1.0                                  // 000000009250: D1010006 0001E506
	v_add_f32_e64 v7, v7, 1.0                                  // 000000009258: D1010007 0001E507
	v_rcp_f32_e32 v4, v4                                       // 000000009260: 7E084504
	v_rcp_f32_e32 v5, v5                                       // 000000009264: 7E0A4505
	v_rcp_f32_e32 v6, v6                                       // 000000009268: 7E0C4506
	v_rcp_f32_e32 v7, v7                                       // 00000000926C: 7E0E4507
	v_mul_f32_e32 v124, v124, v4                               // 000000009270: 0AF8097C
	v_mul_f32_e32 v125, v125, v5                               // 000000009274: 0AFA0B7D
	v_mul_f32_e32 v126, v126, v6                               // 000000009278: 0AFC0D7E
	v_mul_f32_e32 v127, v127, v7                               // 00000000927C: 0AFE0F7F
	v_mul_f32_e32 v124, v124, v204                             // 000000009280: 0AF9997C
	v_mul_f32_e32 v125, v125, v205                             // 000000009284: 0AFB9B7D
	v_mul_f32_e32 v126, v126, v206                             // 000000009288: 0AFD9D7E
	v_mul_f32_e32 v127, v127, v207                             // 00000000928C: 0AFF9F7F
	v_pk_mul_f32 v[4:5], v[128:129], v[128:129]                // 000000009290: D3B14004 18030180
	v_pk_mul_f32 v[6:7], v[130:131], v[130:131]                // 000000009298: D3B14006 18030582
	v_pk_fma_f32 v[4:5], v[4:5], s[78:79], v[8:9]              // 0000000092A0: D3B04004 1C209D04
	v_pk_fma_f32 v[6:7], v[6:7], s[78:79], v[8:9]              // 0000000092A8: D3B04006 1C209D06
	v_pk_mul_f32 v[4:5], v[4:5], v[128:129]                    // 0000000092B0: D3B14004 18030104
	v_pk_mul_f32 v[6:7], v[6:7], v[130:131]                    // 0000000092B8: D3B14006 18030506
	v_pk_mul_f32 v[4:5], v[4:5], s[60:61]                      // 0000000092C0: D3B14004 18007904
	v_pk_mul_f32 v[6:7], v[6:7], s[60:61]                      // 0000000092C8: D3B14006 18007906
	v_exp_f32_e32 v4, v4                                       // 0000000092D0: 7E084104
	v_exp_f32_e32 v5, v5                                       // 0000000092D4: 7E0A4105
	v_exp_f32_e32 v6, v6                                       // 0000000092D8: 7E0C4106
	v_exp_f32_e32 v7, v7                                       // 0000000092DC: 7E0E4107
	v_add_f32_e64 v4, v4, 1.0                                  // 0000000092E0: D1010004 0001E504
	v_add_f32_e64 v5, v5, 1.0                                  // 0000000092E8: D1010005 0001E505
	v_add_f32_e64 v6, v6, 1.0                                  // 0000000092F0: D1010006 0001E506
	v_add_f32_e64 v7, v7, 1.0                                  // 0000000092F8: D1010007 0001E507
	v_rcp_f32_e32 v4, v4                                       // 000000009300: 7E084504
	v_rcp_f32_e32 v5, v5                                       // 000000009304: 7E0A4505
	v_rcp_f32_e32 v6, v6                                       // 000000009308: 7E0C4506
	v_rcp_f32_e32 v7, v7                                       // 00000000930C: 7E0E4507
	v_mul_f32_e32 v128, v128, v4                               // 000000009310: 0B000980
	v_mul_f32_e32 v129, v129, v5                               // 000000009314: 0B020B81
	v_mul_f32_e32 v130, v130, v6                               // 000000009318: 0B040D82
	v_mul_f32_e32 v131, v131, v7                               // 00000000931C: 0B060F83
	v_mul_f32_e32 v128, v128, v208                             // 000000009320: 0B01A180
	v_mul_f32_e32 v129, v129, v209                             // 000000009324: 0B03A381
	v_mul_f32_e32 v130, v130, v210                             // 000000009328: 0B05A582
	v_mul_f32_e32 v131, v131, v211                             // 00000000932C: 0B07A783
	v_pk_mul_f32 v[4:5], v[132:133], v[132:133]                // 000000009330: D3B14004 18030984
	v_pk_mul_f32 v[6:7], v[134:135], v[134:135]                // 000000009338: D3B14006 18030D86
	v_pk_fma_f32 v[4:5], v[4:5], s[78:79], v[8:9]              // 000000009340: D3B04004 1C209D04
	v_pk_fma_f32 v[6:7], v[6:7], s[78:79], v[8:9]              // 000000009348: D3B04006 1C209D06
	v_pk_mul_f32 v[4:5], v[4:5], v[132:133]                    // 000000009350: D3B14004 18030904
	v_pk_mul_f32 v[6:7], v[6:7], v[134:135]                    // 000000009358: D3B14006 18030D06
	v_pk_mul_f32 v[4:5], v[4:5], s[60:61]                      // 000000009360: D3B14004 18007904
	v_pk_mul_f32 v[6:7], v[6:7], s[60:61]                      // 000000009368: D3B14006 18007906
	v_exp_f32_e32 v4, v4                                       // 000000009370: 7E084104
	v_exp_f32_e32 v5, v5                                       // 000000009374: 7E0A4105
	v_exp_f32_e32 v6, v6                                       // 000000009378: 7E0C4106
	v_exp_f32_e32 v7, v7                                       // 00000000937C: 7E0E4107
	v_add_f32_e64 v4, v4, 1.0                                  // 000000009380: D1010004 0001E504
	v_add_f32_e64 v5, v5, 1.0                                  // 000000009388: D1010005 0001E505
	v_add_f32_e64 v6, v6, 1.0                                  // 000000009390: D1010006 0001E506
	v_add_f32_e64 v7, v7, 1.0                                  // 000000009398: D1010007 0001E507
	v_rcp_f32_e32 v4, v4                                       // 0000000093A0: 7E084504
	v_rcp_f32_e32 v5, v5                                       // 0000000093A4: 7E0A4505
	v_rcp_f32_e32 v6, v6                                       // 0000000093A8: 7E0C4506
	v_rcp_f32_e32 v7, v7                                       // 0000000093AC: 7E0E4507
	v_mul_f32_e32 v132, v132, v4                               // 0000000093B0: 0B080984
	v_mul_f32_e32 v133, v133, v5                               // 0000000093B4: 0B0A0B85
	v_mul_f32_e32 v134, v134, v6                               // 0000000093B8: 0B0C0D86
	v_mul_f32_e32 v135, v135, v7                               // 0000000093BC: 0B0E0F87
	v_mul_f32_e32 v132, v132, v212                             // 0000000093C0: 0B09A984
	v_mul_f32_e32 v133, v133, v213                             // 0000000093C4: 0B0BAB85
	v_mul_f32_e32 v134, v134, v214                             // 0000000093C8: 0B0DAD86
	v_mul_f32_e32 v135, v135, v215                             // 0000000093CC: 0B0FAF87
	v_pk_mul_f32 v[4:5], v[136:137], v[136:137]                // 0000000093D0: D3B14004 18031188
	v_pk_mul_f32 v[6:7], v[138:139], v[138:139]                // 0000000093D8: D3B14006 1803158A
	v_pk_fma_f32 v[4:5], v[4:5], s[78:79], v[8:9]              // 0000000093E0: D3B04004 1C209D04
	v_pk_fma_f32 v[6:7], v[6:7], s[78:79], v[8:9]              // 0000000093E8: D3B04006 1C209D06
	v_pk_mul_f32 v[4:5], v[4:5], v[136:137]                    // 0000000093F0: D3B14004 18031104
	v_pk_mul_f32 v[6:7], v[6:7], v[138:139]                    // 0000000093F8: D3B14006 18031506
	v_pk_mul_f32 v[4:5], v[4:5], s[60:61]                      // 000000009400: D3B14004 18007904
	v_pk_mul_f32 v[6:7], v[6:7], s[60:61]                      // 000000009408: D3B14006 18007906
	v_exp_f32_e32 v4, v4                                       // 000000009410: 7E084104
	v_exp_f32_e32 v5, v5                                       // 000000009414: 7E0A4105
	v_exp_f32_e32 v6, v6                                       // 000000009418: 7E0C4106
	v_exp_f32_e32 v7, v7                                       // 00000000941C: 7E0E4107
	v_add_f32_e64 v4, v4, 1.0                                  // 000000009420: D1010004 0001E504
	v_add_f32_e64 v5, v5, 1.0                                  // 000000009428: D1010005 0001E505
	v_add_f32_e64 v6, v6, 1.0                                  // 000000009430: D1010006 0001E506
	v_add_f32_e64 v7, v7, 1.0                                  // 000000009438: D1010007 0001E507
	v_rcp_f32_e32 v4, v4                                       // 000000009440: 7E084504
	v_rcp_f32_e32 v5, v5                                       // 000000009444: 7E0A4505
	v_rcp_f32_e32 v6, v6                                       // 000000009448: 7E0C4506
	v_rcp_f32_e32 v7, v7                                       // 00000000944C: 7E0E4507
	v_mul_f32_e32 v136, v136, v4                               // 000000009450: 0B100988
	v_mul_f32_e32 v137, v137, v5                               // 000000009454: 0B120B89
	v_mul_f32_e32 v138, v138, v6                               // 000000009458: 0B140D8A
	v_mul_f32_e32 v139, v139, v7                               // 00000000945C: 0B160F8B
	v_mul_f32_e32 v136, v136, v216                             // 000000009460: 0B11B188
	v_mul_f32_e32 v137, v137, v217                             // 000000009464: 0B13B389
	v_mul_f32_e32 v138, v138, v218                             // 000000009468: 0B15B58A
	v_mul_f32_e32 v139, v139, v219                             // 00000000946C: 0B17B78B
	v_pk_mul_f32 v[4:5], v[140:141], v[140:141]                // 000000009470: D3B14004 1803198C
	v_pk_mul_f32 v[6:7], v[142:143], v[142:143]                // 000000009478: D3B14006 18031D8E
	v_pk_fma_f32 v[4:5], v[4:5], s[78:79], v[8:9]              // 000000009480: D3B04004 1C209D04
	v_pk_fma_f32 v[6:7], v[6:7], s[78:79], v[8:9]              // 000000009488: D3B04006 1C209D06
	v_pk_mul_f32 v[4:5], v[4:5], v[140:141]                    // 000000009490: D3B14004 18031904
	v_pk_mul_f32 v[6:7], v[6:7], v[142:143]                    // 000000009498: D3B14006 18031D06
	v_pk_mul_f32 v[4:5], v[4:5], s[60:61]                      // 0000000094A0: D3B14004 18007904
	v_pk_mul_f32 v[6:7], v[6:7], s[60:61]                      // 0000000094A8: D3B14006 18007906
	v_exp_f32_e32 v4, v4                                       // 0000000094B0: 7E084104
	v_exp_f32_e32 v5, v5                                       // 0000000094B4: 7E0A4105
	v_exp_f32_e32 v6, v6                                       // 0000000094B8: 7E0C4106
	v_exp_f32_e32 v7, v7                                       // 0000000094BC: 7E0E4107
	v_add_f32_e64 v4, v4, 1.0                                  // 0000000094C0: D1010004 0001E504
	v_add_f32_e64 v5, v5, 1.0                                  // 0000000094C8: D1010005 0001E505
	v_add_f32_e64 v6, v6, 1.0                                  // 0000000094D0: D1010006 0001E506
	v_add_f32_e64 v7, v7, 1.0                                  // 0000000094D8: D1010007 0001E507
	v_rcp_f32_e32 v4, v4                                       // 0000000094E0: 7E084504
	v_rcp_f32_e32 v5, v5                                       // 0000000094E4: 7E0A4505
	v_rcp_f32_e32 v6, v6                                       // 0000000094E8: 7E0C4506
	v_rcp_f32_e32 v7, v7                                       // 0000000094EC: 7E0E4507
	v_mul_f32_e32 v140, v140, v4                               // 0000000094F0: 0B18098C
	v_mul_f32_e32 v141, v141, v5                               // 0000000094F4: 0B1A0B8D
	v_mul_f32_e32 v142, v142, v6                               // 0000000094F8: 0B1C0D8E
	v_mul_f32_e32 v143, v143, v7                               // 0000000094FC: 0B1E0F8F
	v_mul_f32_e32 v140, v140, v220                             // 000000009500: 0B19B98C
	v_mul_f32_e32 v141, v141, v221                             // 000000009504: 0B1BBB8D
	v_mul_f32_e32 v142, v142, v222                             // 000000009508: 0B1DBD8E
	v_mul_f32_e32 v143, v143, v223                             // 00000000950C: 0B1FBF8F
	v_pk_mul_f32 v[4:5], v[144:145], v[144:145]                // 000000009510: D3B14004 18032190
	v_pk_mul_f32 v[6:7], v[146:147], v[146:147]                // 000000009518: D3B14006 18032592
	v_pk_fma_f32 v[4:5], v[4:5], s[78:79], v[8:9]              // 000000009520: D3B04004 1C209D04
	v_pk_fma_f32 v[6:7], v[6:7], s[78:79], v[8:9]              // 000000009528: D3B04006 1C209D06
	v_pk_mul_f32 v[4:5], v[4:5], v[144:145]                    // 000000009530: D3B14004 18032104
	v_pk_mul_f32 v[6:7], v[6:7], v[146:147]                    // 000000009538: D3B14006 18032506
	v_pk_mul_f32 v[4:5], v[4:5], s[60:61]                      // 000000009540: D3B14004 18007904
	v_pk_mul_f32 v[6:7], v[6:7], s[60:61]                      // 000000009548: D3B14006 18007906
	v_exp_f32_e32 v4, v4                                       // 000000009550: 7E084104
	v_exp_f32_e32 v5, v5                                       // 000000009554: 7E0A4105
	v_exp_f32_e32 v6, v6                                       // 000000009558: 7E0C4106
	v_exp_f32_e32 v7, v7                                       // 00000000955C: 7E0E4107
	v_add_f32_e64 v4, v4, 1.0                                  // 000000009560: D1010004 0001E504
	v_add_f32_e64 v5, v5, 1.0                                  // 000000009568: D1010005 0001E505
	v_add_f32_e64 v6, v6, 1.0                                  // 000000009570: D1010006 0001E506
	v_add_f32_e64 v7, v7, 1.0                                  // 000000009578: D1010007 0001E507
	v_rcp_f32_e32 v4, v4                                       // 000000009580: 7E084504
	v_rcp_f32_e32 v5, v5                                       // 000000009584: 7E0A4505
	v_rcp_f32_e32 v6, v6                                       // 000000009588: 7E0C4506
	v_rcp_f32_e32 v7, v7                                       // 00000000958C: 7E0E4507
	v_mul_f32_e32 v144, v144, v4                               // 000000009590: 0B200990
	v_mul_f32_e32 v145, v145, v5                               // 000000009594: 0B220B91
	v_mul_f32_e32 v146, v146, v6                               // 000000009598: 0B240D92
	v_mul_f32_e32 v147, v147, v7                               // 00000000959C: 0B260F93
	v_mul_f32_e32 v144, v144, v224                             // 0000000095A0: 0B21C190
	v_mul_f32_e32 v145, v145, v225                             // 0000000095A4: 0B23C391
	v_mul_f32_e32 v146, v146, v226                             // 0000000095A8: 0B25C592
	v_mul_f32_e32 v147, v147, v227                             // 0000000095AC: 0B27C793
	v_pk_mul_f32 v[4:5], v[148:149], v[148:149]                // 0000000095B0: D3B14004 18032994
	v_pk_mul_f32 v[6:7], v[150:151], v[150:151]                // 0000000095B8: D3B14006 18032D96
	v_pk_fma_f32 v[4:5], v[4:5], s[78:79], v[8:9]              // 0000000095C0: D3B04004 1C209D04
	v_pk_fma_f32 v[6:7], v[6:7], s[78:79], v[8:9]              // 0000000095C8: D3B04006 1C209D06
	v_pk_mul_f32 v[4:5], v[4:5], v[148:149]                    // 0000000095D0: D3B14004 18032904
	v_pk_mul_f32 v[6:7], v[6:7], v[150:151]                    // 0000000095D8: D3B14006 18032D06
	v_pk_mul_f32 v[4:5], v[4:5], s[60:61]                      // 0000000095E0: D3B14004 18007904
	v_pk_mul_f32 v[6:7], v[6:7], s[60:61]                      // 0000000095E8: D3B14006 18007906
	v_exp_f32_e32 v4, v4                                       // 0000000095F0: 7E084104
	v_exp_f32_e32 v5, v5                                       // 0000000095F4: 7E0A4105
	v_exp_f32_e32 v6, v6                                       // 0000000095F8: 7E0C4106
	v_exp_f32_e32 v7, v7                                       // 0000000095FC: 7E0E4107
	v_add_f32_e64 v4, v4, 1.0                                  // 000000009600: D1010004 0001E504
	v_add_f32_e64 v5, v5, 1.0                                  // 000000009608: D1010005 0001E505
	v_add_f32_e64 v6, v6, 1.0                                  // 000000009610: D1010006 0001E506
	v_add_f32_e64 v7, v7, 1.0                                  // 000000009618: D1010007 0001E507
	v_rcp_f32_e32 v4, v4                                       // 000000009620: 7E084504
	v_rcp_f32_e32 v5, v5                                       // 000000009624: 7E0A4505
	v_rcp_f32_e32 v6, v6                                       // 000000009628: 7E0C4506
	v_rcp_f32_e32 v7, v7                                       // 00000000962C: 7E0E4507
	v_mul_f32_e32 v148, v148, v4                               // 000000009630: 0B280994
	v_mul_f32_e32 v149, v149, v5                               // 000000009634: 0B2A0B95
	v_mul_f32_e32 v150, v150, v6                               // 000000009638: 0B2C0D96
	v_mul_f32_e32 v151, v151, v7                               // 00000000963C: 0B2E0F97
	v_mul_f32_e32 v148, v148, v228                             // 000000009640: 0B29C994
	v_mul_f32_e32 v149, v149, v229                             // 000000009644: 0B2BCB95
	v_mul_f32_e32 v150, v150, v230                             // 000000009648: 0B2DCD96
	v_mul_f32_e32 v151, v151, v231                             // 00000000964C: 0B2FCF97
	v_pk_mul_f32 v[4:5], v[152:153], v[152:153]                // 000000009650: D3B14004 18033198
	v_pk_mul_f32 v[6:7], v[154:155], v[154:155]                // 000000009658: D3B14006 1803359A
	v_pk_fma_f32 v[4:5], v[4:5], s[78:79], v[8:9]              // 000000009660: D3B04004 1C209D04
	v_pk_fma_f32 v[6:7], v[6:7], s[78:79], v[8:9]              // 000000009668: D3B04006 1C209D06
	v_pk_mul_f32 v[4:5], v[4:5], v[152:153]                    // 000000009670: D3B14004 18033104
	v_pk_mul_f32 v[6:7], v[6:7], v[154:155]                    // 000000009678: D3B14006 18033506
	v_pk_mul_f32 v[4:5], v[4:5], s[60:61]                      // 000000009680: D3B14004 18007904
	v_pk_mul_f32 v[6:7], v[6:7], s[60:61]                      // 000000009688: D3B14006 18007906
	v_exp_f32_e32 v4, v4                                       // 000000009690: 7E084104
	v_exp_f32_e32 v5, v5                                       // 000000009694: 7E0A4105
	v_exp_f32_e32 v6, v6                                       // 000000009698: 7E0C4106
	v_exp_f32_e32 v7, v7                                       // 00000000969C: 7E0E4107
	v_add_f32_e64 v4, v4, 1.0                                  // 0000000096A0: D1010004 0001E504
	v_add_f32_e64 v5, v5, 1.0                                  // 0000000096A8: D1010005 0001E505
	v_add_f32_e64 v6, v6, 1.0                                  // 0000000096B0: D1010006 0001E506
	v_add_f32_e64 v7, v7, 1.0                                  // 0000000096B8: D1010007 0001E507
	v_rcp_f32_e32 v4, v4                                       // 0000000096C0: 7E084504
	v_rcp_f32_e32 v5, v5                                       // 0000000096C4: 7E0A4505
	v_rcp_f32_e32 v6, v6                                       // 0000000096C8: 7E0C4506
	v_rcp_f32_e32 v7, v7                                       // 0000000096CC: 7E0E4507
	v_mul_f32_e32 v152, v152, v4                               // 0000000096D0: 0B300998
	v_mul_f32_e32 v153, v153, v5                               // 0000000096D4: 0B320B99
	v_mul_f32_e32 v154, v154, v6                               // 0000000096D8: 0B340D9A
	v_mul_f32_e32 v155, v155, v7                               // 0000000096DC: 0B360F9B
	v_mul_f32_e32 v152, v152, v232                             // 0000000096E0: 0B31D198
	v_mul_f32_e32 v153, v153, v233                             // 0000000096E4: 0B33D399
	v_mul_f32_e32 v154, v154, v234                             // 0000000096E8: 0B35D59A
	v_mul_f32_e32 v155, v155, v235                             // 0000000096EC: 0B37D79B
	v_pk_mul_f32 v[4:5], v[156:157], v[156:157]                // 0000000096F0: D3B14004 1803399C
	v_pk_mul_f32 v[6:7], v[158:159], v[158:159]                // 0000000096F8: D3B14006 18033D9E
	v_pk_fma_f32 v[4:5], v[4:5], s[78:79], v[8:9]              // 000000009700: D3B04004 1C209D04
	v_pk_fma_f32 v[6:7], v[6:7], s[78:79], v[8:9]              // 000000009708: D3B04006 1C209D06
	v_pk_mul_f32 v[4:5], v[4:5], v[156:157]                    // 000000009710: D3B14004 18033904
	v_pk_mul_f32 v[6:7], v[6:7], v[158:159]                    // 000000009718: D3B14006 18033D06
	v_pk_mul_f32 v[4:5], v[4:5], s[60:61]                      // 000000009720: D3B14004 18007904
	v_pk_mul_f32 v[6:7], v[6:7], s[60:61]                      // 000000009728: D3B14006 18007906
	v_exp_f32_e32 v4, v4                                       // 000000009730: 7E084104
	v_exp_f32_e32 v5, v5                                       // 000000009734: 7E0A4105
	v_exp_f32_e32 v6, v6                                       // 000000009738: 7E0C4106
	v_exp_f32_e32 v7, v7                                       // 00000000973C: 7E0E4107
	v_add_f32_e64 v4, v4, 1.0                                  // 000000009740: D1010004 0001E504
	v_add_f32_e64 v5, v5, 1.0                                  // 000000009748: D1010005 0001E505
	v_add_f32_e64 v6, v6, 1.0                                  // 000000009750: D1010006 0001E506
	v_add_f32_e64 v7, v7, 1.0                                  // 000000009758: D1010007 0001E507
	v_rcp_f32_e32 v4, v4                                       // 000000009760: 7E084504
	v_rcp_f32_e32 v5, v5                                       // 000000009764: 7E0A4505
	v_rcp_f32_e32 v6, v6                                       // 000000009768: 7E0C4506
	v_rcp_f32_e32 v7, v7                                       // 00000000976C: 7E0E4507
	v_mul_f32_e32 v156, v156, v4                               // 000000009770: 0B38099C
	v_mul_f32_e32 v157, v157, v5                               // 000000009774: 0B3A0B9D
	v_mul_f32_e32 v158, v158, v6                               // 000000009778: 0B3C0D9E
	v_mul_f32_e32 v159, v159, v7                               // 00000000977C: 0B3E0F9F
	v_mul_f32_e32 v156, v156, v236                             // 000000009780: 0B39D99C
	v_mul_f32_e32 v157, v157, v237                             // 000000009784: 0B3BDB9D
	v_mul_f32_e32 v158, v158, v238                             // 000000009788: 0B3DDD9E
	v_mul_f32_e32 v159, v159, v239                             // 00000000978C: 0B3FDF9F
	v_pk_mul_f32 v[4:5], v[160:161], v[160:161]                // 000000009790: D3B14004 180341A0
	v_pk_mul_f32 v[6:7], v[162:163], v[162:163]                // 000000009798: D3B14006 180345A2
	v_pk_fma_f32 v[4:5], v[4:5], s[78:79], v[8:9]              // 0000000097A0: D3B04004 1C209D04
	v_pk_fma_f32 v[6:7], v[6:7], s[78:79], v[8:9]              // 0000000097A8: D3B04006 1C209D06
	v_pk_mul_f32 v[4:5], v[4:5], v[160:161]                    // 0000000097B0: D3B14004 18034104
	v_pk_mul_f32 v[6:7], v[6:7], v[162:163]                    // 0000000097B8: D3B14006 18034506
	v_pk_mul_f32 v[4:5], v[4:5], s[60:61]                      // 0000000097C0: D3B14004 18007904
	v_pk_mul_f32 v[6:7], v[6:7], s[60:61]                      // 0000000097C8: D3B14006 18007906
	v_exp_f32_e32 v4, v4                                       // 0000000097D0: 7E084104
	v_exp_f32_e32 v5, v5                                       // 0000000097D4: 7E0A4105
	v_exp_f32_e32 v6, v6                                       // 0000000097D8: 7E0C4106
	v_exp_f32_e32 v7, v7                                       // 0000000097DC: 7E0E4107
	v_add_f32_e64 v4, v4, 1.0                                  // 0000000097E0: D1010004 0001E504
	v_add_f32_e64 v5, v5, 1.0                                  // 0000000097E8: D1010005 0001E505
	v_add_f32_e64 v6, v6, 1.0                                  // 0000000097F0: D1010006 0001E506
	v_add_f32_e64 v7, v7, 1.0                                  // 0000000097F8: D1010007 0001E507
	v_rcp_f32_e32 v4, v4                                       // 000000009800: 7E084504
	v_rcp_f32_e32 v5, v5                                       // 000000009804: 7E0A4505
	v_rcp_f32_e32 v6, v6                                       // 000000009808: 7E0C4506
	v_rcp_f32_e32 v7, v7                                       // 00000000980C: 7E0E4507
	v_mul_f32_e32 v160, v160, v4                               // 000000009810: 0B4009A0
	v_mul_f32_e32 v161, v161, v5                               // 000000009814: 0B420BA1
	v_mul_f32_e32 v162, v162, v6                               // 000000009818: 0B440DA2
	v_mul_f32_e32 v163, v163, v7                               // 00000000981C: 0B460FA3
	v_mul_f32_e32 v160, v160, v240                             // 000000009820: 0B41E1A0
	v_mul_f32_e32 v161, v161, v241                             // 000000009824: 0B43E3A1
	v_mul_f32_e32 v162, v162, v242                             // 000000009828: 0B45E5A2
	v_mul_f32_e32 v163, v163, v243                             // 00000000982C: 0B47E7A3
	v_pk_mul_f32 v[4:5], v[164:165], v[164:165]                // 000000009830: D3B14004 180349A4
	v_pk_mul_f32 v[6:7], v[166:167], v[166:167]                // 000000009838: D3B14006 18034DA6
	v_pk_fma_f32 v[4:5], v[4:5], s[78:79], v[8:9]              // 000000009840: D3B04004 1C209D04
	v_pk_fma_f32 v[6:7], v[6:7], s[78:79], v[8:9]              // 000000009848: D3B04006 1C209D06
	v_pk_mul_f32 v[4:5], v[4:5], v[164:165]                    // 000000009850: D3B14004 18034904
	v_pk_mul_f32 v[6:7], v[6:7], v[166:167]                    // 000000009858: D3B14006 18034D06
	v_pk_mul_f32 v[4:5], v[4:5], s[60:61]                      // 000000009860: D3B14004 18007904
	v_pk_mul_f32 v[6:7], v[6:7], s[60:61]                      // 000000009868: D3B14006 18007906
	v_exp_f32_e32 v4, v4                                       // 000000009870: 7E084104
	v_exp_f32_e32 v5, v5                                       // 000000009874: 7E0A4105
	v_exp_f32_e32 v6, v6                                       // 000000009878: 7E0C4106
	v_exp_f32_e32 v7, v7                                       // 00000000987C: 7E0E4107
	v_add_f32_e64 v4, v4, 1.0                                  // 000000009880: D1010004 0001E504
	v_add_f32_e64 v5, v5, 1.0                                  // 000000009888: D1010005 0001E505
	v_add_f32_e64 v6, v6, 1.0                                  // 000000009890: D1010006 0001E506
	v_add_f32_e64 v7, v7, 1.0                                  // 000000009898: D1010007 0001E507
	v_rcp_f32_e32 v4, v4                                       // 0000000098A0: 7E084504
	v_rcp_f32_e32 v5, v5                                       // 0000000098A4: 7E0A4505
	v_rcp_f32_e32 v6, v6                                       // 0000000098A8: 7E0C4506
	v_rcp_f32_e32 v7, v7                                       // 0000000098AC: 7E0E4507
	v_mul_f32_e32 v164, v164, v4                               // 0000000098B0: 0B4809A4
	v_mul_f32_e32 v165, v165, v5                               // 0000000098B4: 0B4A0BA5
	v_mul_f32_e32 v166, v166, v6                               // 0000000098B8: 0B4C0DA6
	v_mul_f32_e32 v167, v167, v7                               // 0000000098BC: 0B4E0FA7
	v_mul_f32_e32 v164, v164, v244                             // 0000000098C0: 0B49E9A4
	v_mul_f32_e32 v165, v165, v245                             // 0000000098C4: 0B4BEBA5
	v_mul_f32_e32 v166, v166, v246                             // 0000000098C8: 0B4DEDA6
	v_mul_f32_e32 v167, v167, v247                             // 0000000098CC: 0B4FEFA7
	v_pk_mul_f32 v[4:5], v[168:169], v[168:169]                // 0000000098D0: D3B14004 180351A8
	v_pk_mul_f32 v[6:7], v[170:171], v[170:171]                // 0000000098D8: D3B14006 180355AA
	v_pk_fma_f32 v[4:5], v[4:5], s[78:79], v[8:9]              // 0000000098E0: D3B04004 1C209D04
	v_pk_fma_f32 v[6:7], v[6:7], s[78:79], v[8:9]              // 0000000098E8: D3B04006 1C209D06
	v_pk_mul_f32 v[4:5], v[4:5], v[168:169]                    // 0000000098F0: D3B14004 18035104
	v_pk_mul_f32 v[6:7], v[6:7], v[170:171]                    // 0000000098F8: D3B14006 18035506
	v_pk_mul_f32 v[4:5], v[4:5], s[60:61]                      // 000000009900: D3B14004 18007904
	v_pk_mul_f32 v[6:7], v[6:7], s[60:61]                      // 000000009908: D3B14006 18007906
	v_exp_f32_e32 v4, v4                                       // 000000009910: 7E084104
	v_exp_f32_e32 v5, v5                                       // 000000009914: 7E0A4105
	v_exp_f32_e32 v6, v6                                       // 000000009918: 7E0C4106
	v_exp_f32_e32 v7, v7                                       // 00000000991C: 7E0E4107
	v_add_f32_e64 v4, v4, 1.0                                  // 000000009920: D1010004 0001E504
	v_add_f32_e64 v5, v5, 1.0                                  // 000000009928: D1010005 0001E505
	v_add_f32_e64 v6, v6, 1.0                                  // 000000009930: D1010006 0001E506
	v_add_f32_e64 v7, v7, 1.0                                  // 000000009938: D1010007 0001E507
	v_rcp_f32_e32 v4, v4                                       // 000000009940: 7E084504
	v_rcp_f32_e32 v5, v5                                       // 000000009944: 7E0A4505
	v_rcp_f32_e32 v6, v6                                       // 000000009948: 7E0C4506
	v_rcp_f32_e32 v7, v7                                       // 00000000994C: 7E0E4507
	v_mul_f32_e32 v168, v168, v4                               // 000000009950: 0B5009A8
	v_mul_f32_e32 v169, v169, v5                               // 000000009954: 0B520BA9
	v_mul_f32_e32 v170, v170, v6                               // 000000009958: 0B540DAA
	v_mul_f32_e32 v171, v171, v7                               // 00000000995C: 0B560FAB
	v_mul_f32_e32 v168, v168, v248                             // 000000009960: 0B51F1A8
	v_mul_f32_e32 v169, v169, v249                             // 000000009964: 0B53F3A9
	v_mul_f32_e32 v170, v170, v250                             // 000000009968: 0B55F5AA
	v_mul_f32_e32 v171, v171, v251                             // 00000000996C: 0B57F7AB
	s_branch label_1E5D                                        // 000000009970: BF820280

0000000000009974 <label_1BDD>:
	v_mul_f32_e64 v4, -v92, s6                                 // 000000009974: D1050004 20000D5C
	v_mul_f32_e64 v5, -v93, s6                                 // 00000000997C: D1050005 20000D5D
	v_mul_f32_e64 v6, -v94, s6                                 // 000000009984: D1050006 20000D5E
	v_mul_f32_e64 v7, -v95, s6                                 // 00000000998C: D1050007 20000D5F
	v_exp_f32_e32 v4, v4                                       // 000000009994: 7E084104
	v_exp_f32_e32 v5, v5                                       // 000000009998: 7E0A4105
	v_exp_f32_e32 v6, v6                                       // 00000000999C: 7E0C4106
	v_exp_f32_e32 v7, v7                                       // 0000000099A0: 7E0E4107
	v_add_f32_e64 v4, v4, 1.0                                  // 0000000099A4: D1010004 0001E504
	v_add_f32_e64 v5, v5, 1.0                                  // 0000000099AC: D1010005 0001E505
	v_add_f32_e64 v6, v6, 1.0                                  // 0000000099B4: D1010006 0001E506
	v_add_f32_e64 v7, v7, 1.0                                  // 0000000099BC: D1010007 0001E507
	v_rcp_f32_e32 v4, v4                                       // 0000000099C4: 7E084504
	v_rcp_f32_e32 v5, v5                                       // 0000000099C8: 7E0A4505
	v_rcp_f32_e32 v6, v6                                       // 0000000099CC: 7E0C4506
	v_rcp_f32_e32 v7, v7                                       // 0000000099D0: 7E0E4507
	v_mul_f32_e32 v92, v92, v4                                 // 0000000099D4: 0AB8095C
	v_mul_f32_e32 v93, v93, v5                                 // 0000000099D8: 0ABA0B5D
	v_mul_f32_e32 v94, v94, v6                                 // 0000000099DC: 0ABC0D5E
	v_mul_f32_e32 v95, v95, v7                                 // 0000000099E0: 0ABE0F5F
	v_mul_f32_e32 v92, v92, v172                               // 0000000099E4: 0AB9595C
	v_mul_f32_e32 v93, v93, v173                               // 0000000099E8: 0ABB5B5D
	v_mul_f32_e32 v94, v94, v174                               // 0000000099EC: 0ABD5D5E
	v_mul_f32_e32 v95, v95, v175                               // 0000000099F0: 0ABF5F5F
	v_mul_f32_e64 v4, -v96, s6                                 // 0000000099F4: D1050004 20000D60
	v_mul_f32_e64 v5, -v97, s6                                 // 0000000099FC: D1050005 20000D61
	v_mul_f32_e64 v6, -v98, s6                                 // 000000009A04: D1050006 20000D62
	v_mul_f32_e64 v7, -v99, s6                                 // 000000009A0C: D1050007 20000D63
	v_exp_f32_e32 v4, v4                                       // 000000009A14: 7E084104
	v_exp_f32_e32 v5, v5                                       // 000000009A18: 7E0A4105
	v_exp_f32_e32 v6, v6                                       // 000000009A1C: 7E0C4106
	v_exp_f32_e32 v7, v7                                       // 000000009A20: 7E0E4107
	v_add_f32_e64 v4, v4, 1.0                                  // 000000009A24: D1010004 0001E504
	v_add_f32_e64 v5, v5, 1.0                                  // 000000009A2C: D1010005 0001E505
	v_add_f32_e64 v6, v6, 1.0                                  // 000000009A34: D1010006 0001E506
	v_add_f32_e64 v7, v7, 1.0                                  // 000000009A3C: D1010007 0001E507
	v_rcp_f32_e32 v4, v4                                       // 000000009A44: 7E084504
	v_rcp_f32_e32 v5, v5                                       // 000000009A48: 7E0A4505
	v_rcp_f32_e32 v6, v6                                       // 000000009A4C: 7E0C4506
	v_rcp_f32_e32 v7, v7                                       // 000000009A50: 7E0E4507
	v_mul_f32_e32 v96, v96, v4                                 // 000000009A54: 0AC00960
	v_mul_f32_e32 v97, v97, v5                                 // 000000009A58: 0AC20B61
	v_mul_f32_e32 v98, v98, v6                                 // 000000009A5C: 0AC40D62
	v_mul_f32_e32 v99, v99, v7                                 // 000000009A60: 0AC60F63
	v_mul_f32_e32 v96, v96, v176                               // 000000009A64: 0AC16160
	v_mul_f32_e32 v97, v97, v177                               // 000000009A68: 0AC36361
	v_mul_f32_e32 v98, v98, v178                               // 000000009A6C: 0AC56562
	v_mul_f32_e32 v99, v99, v179                               // 000000009A70: 0AC76763
	v_mul_f32_e64 v4, -v100, s6                                // 000000009A74: D1050004 20000D64
	v_mul_f32_e64 v5, -v101, s6                                // 000000009A7C: D1050005 20000D65
	v_mul_f32_e64 v6, -v102, s6                                // 000000009A84: D1050006 20000D66
	v_mul_f32_e64 v7, -v103, s6                                // 000000009A8C: D1050007 20000D67
	v_exp_f32_e32 v4, v4                                       // 000000009A94: 7E084104
	v_exp_f32_e32 v5, v5                                       // 000000009A98: 7E0A4105
	v_exp_f32_e32 v6, v6                                       // 000000009A9C: 7E0C4106
	v_exp_f32_e32 v7, v7                                       // 000000009AA0: 7E0E4107
	v_add_f32_e64 v4, v4, 1.0                                  // 000000009AA4: D1010004 0001E504
	v_add_f32_e64 v5, v5, 1.0                                  // 000000009AAC: D1010005 0001E505
	v_add_f32_e64 v6, v6, 1.0                                  // 000000009AB4: D1010006 0001E506
	v_add_f32_e64 v7, v7, 1.0                                  // 000000009ABC: D1010007 0001E507
	v_rcp_f32_e32 v4, v4                                       // 000000009AC4: 7E084504
	v_rcp_f32_e32 v5, v5                                       // 000000009AC8: 7E0A4505
	v_rcp_f32_e32 v6, v6                                       // 000000009ACC: 7E0C4506
	v_rcp_f32_e32 v7, v7                                       // 000000009AD0: 7E0E4507
	v_mul_f32_e32 v100, v100, v4                               // 000000009AD4: 0AC80964
	v_mul_f32_e32 v101, v101, v5                               // 000000009AD8: 0ACA0B65
	v_mul_f32_e32 v102, v102, v6                               // 000000009ADC: 0ACC0D66
	v_mul_f32_e32 v103, v103, v7                               // 000000009AE0: 0ACE0F67
	v_mul_f32_e32 v100, v100, v180                             // 000000009AE4: 0AC96964
	v_mul_f32_e32 v101, v101, v181                             // 000000009AE8: 0ACB6B65
	v_mul_f32_e32 v102, v102, v182                             // 000000009AEC: 0ACD6D66
	v_mul_f32_e32 v103, v103, v183                             // 000000009AF0: 0ACF6F67
	v_mul_f32_e64 v4, -v104, s6                                // 000000009AF4: D1050004 20000D68
	v_mul_f32_e64 v5, -v105, s6                                // 000000009AFC: D1050005 20000D69
	v_mul_f32_e64 v6, -v106, s6                                // 000000009B04: D1050006 20000D6A
	v_mul_f32_e64 v7, -v107, s6                                // 000000009B0C: D1050007 20000D6B
	v_exp_f32_e32 v4, v4                                       // 000000009B14: 7E084104
	v_exp_f32_e32 v5, v5                                       // 000000009B18: 7E0A4105
	v_exp_f32_e32 v6, v6                                       // 000000009B1C: 7E0C4106
	v_exp_f32_e32 v7, v7                                       // 000000009B20: 7E0E4107
	v_add_f32_e64 v4, v4, 1.0                                  // 000000009B24: D1010004 0001E504
	v_add_f32_e64 v5, v5, 1.0                                  // 000000009B2C: D1010005 0001E505
	v_add_f32_e64 v6, v6, 1.0                                  // 000000009B34: D1010006 0001E506
	v_add_f32_e64 v7, v7, 1.0                                  // 000000009B3C: D1010007 0001E507
	v_rcp_f32_e32 v4, v4                                       // 000000009B44: 7E084504
	v_rcp_f32_e32 v5, v5                                       // 000000009B48: 7E0A4505
	v_rcp_f32_e32 v6, v6                                       // 000000009B4C: 7E0C4506
	v_rcp_f32_e32 v7, v7                                       // 000000009B50: 7E0E4507
	v_mul_f32_e32 v104, v104, v4                               // 000000009B54: 0AD00968
	v_mul_f32_e32 v105, v105, v5                               // 000000009B58: 0AD20B69
	v_mul_f32_e32 v106, v106, v6                               // 000000009B5C: 0AD40D6A
	v_mul_f32_e32 v107, v107, v7                               // 000000009B60: 0AD60F6B
	v_mul_f32_e32 v104, v104, v184                             // 000000009B64: 0AD17168
	v_mul_f32_e32 v105, v105, v185                             // 000000009B68: 0AD37369
	v_mul_f32_e32 v106, v106, v186                             // 000000009B6C: 0AD5756A
	v_mul_f32_e32 v107, v107, v187                             // 000000009B70: 0AD7776B
	v_mul_f32_e64 v4, -v108, s6                                // 000000009B74: D1050004 20000D6C
	v_mul_f32_e64 v5, -v109, s6                                // 000000009B7C: D1050005 20000D6D
	v_mul_f32_e64 v6, -v110, s6                                // 000000009B84: D1050006 20000D6E
	v_mul_f32_e64 v7, -v111, s6                                // 000000009B8C: D1050007 20000D6F
	v_exp_f32_e32 v4, v4                                       // 000000009B94: 7E084104
	v_exp_f32_e32 v5, v5                                       // 000000009B98: 7E0A4105
	v_exp_f32_e32 v6, v6                                       // 000000009B9C: 7E0C4106
	v_exp_f32_e32 v7, v7                                       // 000000009BA0: 7E0E4107
	v_add_f32_e64 v4, v4, 1.0                                  // 000000009BA4: D1010004 0001E504
	v_add_f32_e64 v5, v5, 1.0                                  // 000000009BAC: D1010005 0001E505
	v_add_f32_e64 v6, v6, 1.0                                  // 000000009BB4: D1010006 0001E506
	v_add_f32_e64 v7, v7, 1.0                                  // 000000009BBC: D1010007 0001E507
	v_rcp_f32_e32 v4, v4                                       // 000000009BC4: 7E084504
	v_rcp_f32_e32 v5, v5                                       // 000000009BC8: 7E0A4505
	v_rcp_f32_e32 v6, v6                                       // 000000009BCC: 7E0C4506
	v_rcp_f32_e32 v7, v7                                       // 000000009BD0: 7E0E4507
	v_mul_f32_e32 v108, v108, v4                               // 000000009BD4: 0AD8096C
	v_mul_f32_e32 v109, v109, v5                               // 000000009BD8: 0ADA0B6D
	v_mul_f32_e32 v110, v110, v6                               // 000000009BDC: 0ADC0D6E
	v_mul_f32_e32 v111, v111, v7                               // 000000009BE0: 0ADE0F6F
	v_mul_f32_e32 v108, v108, v188                             // 000000009BE4: 0AD9796C
	v_mul_f32_e32 v109, v109, v189                             // 000000009BE8: 0ADB7B6D
	v_mul_f32_e32 v110, v110, v190                             // 000000009BEC: 0ADD7D6E
	v_mul_f32_e32 v111, v111, v191                             // 000000009BF0: 0ADF7F6F
	v_mul_f32_e64 v4, -v112, s6                                // 000000009BF4: D1050004 20000D70
	v_mul_f32_e64 v5, -v113, s6                                // 000000009BFC: D1050005 20000D71
	v_mul_f32_e64 v6, -v114, s6                                // 000000009C04: D1050006 20000D72
	v_mul_f32_e64 v7, -v115, s6                                // 000000009C0C: D1050007 20000D73
	v_exp_f32_e32 v4, v4                                       // 000000009C14: 7E084104
	v_exp_f32_e32 v5, v5                                       // 000000009C18: 7E0A4105
	v_exp_f32_e32 v6, v6                                       // 000000009C1C: 7E0C4106
	v_exp_f32_e32 v7, v7                                       // 000000009C20: 7E0E4107
	v_add_f32_e64 v4, v4, 1.0                                  // 000000009C24: D1010004 0001E504
	v_add_f32_e64 v5, v5, 1.0                                  // 000000009C2C: D1010005 0001E505
	v_add_f32_e64 v6, v6, 1.0                                  // 000000009C34: D1010006 0001E506
	v_add_f32_e64 v7, v7, 1.0                                  // 000000009C3C: D1010007 0001E507
	v_rcp_f32_e32 v4, v4                                       // 000000009C44: 7E084504
	v_rcp_f32_e32 v5, v5                                       // 000000009C48: 7E0A4505
	v_rcp_f32_e32 v6, v6                                       // 000000009C4C: 7E0C4506
	v_rcp_f32_e32 v7, v7                                       // 000000009C50: 7E0E4507
	v_mul_f32_e32 v112, v112, v4                               // 000000009C54: 0AE00970
	v_mul_f32_e32 v113, v113, v5                               // 000000009C58: 0AE20B71
	v_mul_f32_e32 v114, v114, v6                               // 000000009C5C: 0AE40D72
	v_mul_f32_e32 v115, v115, v7                               // 000000009C60: 0AE60F73
	v_mul_f32_e32 v112, v112, v192                             // 000000009C64: 0AE18170
	v_mul_f32_e32 v113, v113, v193                             // 000000009C68: 0AE38371
	v_mul_f32_e32 v114, v114, v194                             // 000000009C6C: 0AE58572
	v_mul_f32_e32 v115, v115, v195                             // 000000009C70: 0AE78773
	v_mul_f32_e64 v4, -v116, s6                                // 000000009C74: D1050004 20000D74
	v_mul_f32_e64 v5, -v117, s6                                // 000000009C7C: D1050005 20000D75
	v_mul_f32_e64 v6, -v118, s6                                // 000000009C84: D1050006 20000D76
	v_mul_f32_e64 v7, -v119, s6                                // 000000009C8C: D1050007 20000D77
	v_exp_f32_e32 v4, v4                                       // 000000009C94: 7E084104
	v_exp_f32_e32 v5, v5                                       // 000000009C98: 7E0A4105
	v_exp_f32_e32 v6, v6                                       // 000000009C9C: 7E0C4106
	v_exp_f32_e32 v7, v7                                       // 000000009CA0: 7E0E4107
	v_add_f32_e64 v4, v4, 1.0                                  // 000000009CA4: D1010004 0001E504
	v_add_f32_e64 v5, v5, 1.0                                  // 000000009CAC: D1010005 0001E505
	v_add_f32_e64 v6, v6, 1.0                                  // 000000009CB4: D1010006 0001E506
	v_add_f32_e64 v7, v7, 1.0                                  // 000000009CBC: D1010007 0001E507
	v_rcp_f32_e32 v4, v4                                       // 000000009CC4: 7E084504
	v_rcp_f32_e32 v5, v5                                       // 000000009CC8: 7E0A4505
	v_rcp_f32_e32 v6, v6                                       // 000000009CCC: 7E0C4506
	v_rcp_f32_e32 v7, v7                                       // 000000009CD0: 7E0E4507
	v_mul_f32_e32 v116, v116, v4                               // 000000009CD4: 0AE80974
	v_mul_f32_e32 v117, v117, v5                               // 000000009CD8: 0AEA0B75
	v_mul_f32_e32 v118, v118, v6                               // 000000009CDC: 0AEC0D76
	v_mul_f32_e32 v119, v119, v7                               // 000000009CE0: 0AEE0F77
	v_mul_f32_e32 v116, v116, v196                             // 000000009CE4: 0AE98974
	v_mul_f32_e32 v117, v117, v197                             // 000000009CE8: 0AEB8B75
	v_mul_f32_e32 v118, v118, v198                             // 000000009CEC: 0AED8D76
	v_mul_f32_e32 v119, v119, v199                             // 000000009CF0: 0AEF8F77
	v_mul_f32_e64 v4, -v120, s6                                // 000000009CF4: D1050004 20000D78
	v_mul_f32_e64 v5, -v121, s6                                // 000000009CFC: D1050005 20000D79
	v_mul_f32_e64 v6, -v122, s6                                // 000000009D04: D1050006 20000D7A
	v_mul_f32_e64 v7, -v123, s6                                // 000000009D0C: D1050007 20000D7B
	v_exp_f32_e32 v4, v4                                       // 000000009D14: 7E084104
	v_exp_f32_e32 v5, v5                                       // 000000009D18: 7E0A4105
	v_exp_f32_e32 v6, v6                                       // 000000009D1C: 7E0C4106
	v_exp_f32_e32 v7, v7                                       // 000000009D20: 7E0E4107
	v_add_f32_e64 v4, v4, 1.0                                  // 000000009D24: D1010004 0001E504
	v_add_f32_e64 v5, v5, 1.0                                  // 000000009D2C: D1010005 0001E505
	v_add_f32_e64 v6, v6, 1.0                                  // 000000009D34: D1010006 0001E506
	v_add_f32_e64 v7, v7, 1.0                                  // 000000009D3C: D1010007 0001E507
	v_rcp_f32_e32 v4, v4                                       // 000000009D44: 7E084504
	v_rcp_f32_e32 v5, v5                                       // 000000009D48: 7E0A4505
	v_rcp_f32_e32 v6, v6                                       // 000000009D4C: 7E0C4506
	v_rcp_f32_e32 v7, v7                                       // 000000009D50: 7E0E4507
	v_mul_f32_e32 v120, v120, v4                               // 000000009D54: 0AF00978
	v_mul_f32_e32 v121, v121, v5                               // 000000009D58: 0AF20B79
	v_mul_f32_e32 v122, v122, v6                               // 000000009D5C: 0AF40D7A
	v_mul_f32_e32 v123, v123, v7                               // 000000009D60: 0AF60F7B
	v_mul_f32_e32 v120, v120, v200                             // 000000009D64: 0AF19178
	v_mul_f32_e32 v121, v121, v201                             // 000000009D68: 0AF39379
	v_mul_f32_e32 v122, v122, v202                             // 000000009D6C: 0AF5957A
	v_mul_f32_e32 v123, v123, v203                             // 000000009D70: 0AF7977B
	v_mul_f32_e64 v4, -v124, s6                                // 000000009D74: D1050004 20000D7C
	v_mul_f32_e64 v5, -v125, s6                                // 000000009D7C: D1050005 20000D7D
	v_mul_f32_e64 v6, -v126, s6                                // 000000009D84: D1050006 20000D7E
	v_mul_f32_e64 v7, -v127, s6                                // 000000009D8C: D1050007 20000D7F
	v_exp_f32_e32 v4, v4                                       // 000000009D94: 7E084104
	v_exp_f32_e32 v5, v5                                       // 000000009D98: 7E0A4105
	v_exp_f32_e32 v6, v6                                       // 000000009D9C: 7E0C4106
	v_exp_f32_e32 v7, v7                                       // 000000009DA0: 7E0E4107
	v_add_f32_e64 v4, v4, 1.0                                  // 000000009DA4: D1010004 0001E504
	v_add_f32_e64 v5, v5, 1.0                                  // 000000009DAC: D1010005 0001E505
	v_add_f32_e64 v6, v6, 1.0                                  // 000000009DB4: D1010006 0001E506
	v_add_f32_e64 v7, v7, 1.0                                  // 000000009DBC: D1010007 0001E507
	v_rcp_f32_e32 v4, v4                                       // 000000009DC4: 7E084504
	v_rcp_f32_e32 v5, v5                                       // 000000009DC8: 7E0A4505
	v_rcp_f32_e32 v6, v6                                       // 000000009DCC: 7E0C4506
	v_rcp_f32_e32 v7, v7                                       // 000000009DD0: 7E0E4507
	v_mul_f32_e32 v124, v124, v4                               // 000000009DD4: 0AF8097C
	v_mul_f32_e32 v125, v125, v5                               // 000000009DD8: 0AFA0B7D
	v_mul_f32_e32 v126, v126, v6                               // 000000009DDC: 0AFC0D7E
	v_mul_f32_e32 v127, v127, v7                               // 000000009DE0: 0AFE0F7F
	v_mul_f32_e32 v124, v124, v204                             // 000000009DE4: 0AF9997C
	v_mul_f32_e32 v125, v125, v205                             // 000000009DE8: 0AFB9B7D
	v_mul_f32_e32 v126, v126, v206                             // 000000009DEC: 0AFD9D7E
	v_mul_f32_e32 v127, v127, v207                             // 000000009DF0: 0AFF9F7F
	v_mul_f32_e64 v4, -v128, s6                                // 000000009DF4: D1050004 20000D80
	v_mul_f32_e64 v5, -v129, s6                                // 000000009DFC: D1050005 20000D81
	v_mul_f32_e64 v6, -v130, s6                                // 000000009E04: D1050006 20000D82
	v_mul_f32_e64 v7, -v131, s6                                // 000000009E0C: D1050007 20000D83
	v_exp_f32_e32 v4, v4                                       // 000000009E14: 7E084104
	v_exp_f32_e32 v5, v5                                       // 000000009E18: 7E0A4105
	v_exp_f32_e32 v6, v6                                       // 000000009E1C: 7E0C4106
	v_exp_f32_e32 v7, v7                                       // 000000009E20: 7E0E4107
	v_add_f32_e64 v4, v4, 1.0                                  // 000000009E24: D1010004 0001E504
	v_add_f32_e64 v5, v5, 1.0                                  // 000000009E2C: D1010005 0001E505
	v_add_f32_e64 v6, v6, 1.0                                  // 000000009E34: D1010006 0001E506
	v_add_f32_e64 v7, v7, 1.0                                  // 000000009E3C: D1010007 0001E507
	v_rcp_f32_e32 v4, v4                                       // 000000009E44: 7E084504
	v_rcp_f32_e32 v5, v5                                       // 000000009E48: 7E0A4505
	v_rcp_f32_e32 v6, v6                                       // 000000009E4C: 7E0C4506
	v_rcp_f32_e32 v7, v7                                       // 000000009E50: 7E0E4507
	v_mul_f32_e32 v128, v128, v4                               // 000000009E54: 0B000980
	v_mul_f32_e32 v129, v129, v5                               // 000000009E58: 0B020B81
	v_mul_f32_e32 v130, v130, v6                               // 000000009E5C: 0B040D82
	v_mul_f32_e32 v131, v131, v7                               // 000000009E60: 0B060F83
	v_mul_f32_e32 v128, v128, v208                             // 000000009E64: 0B01A180
	v_mul_f32_e32 v129, v129, v209                             // 000000009E68: 0B03A381
	v_mul_f32_e32 v130, v130, v210                             // 000000009E6C: 0B05A582
	v_mul_f32_e32 v131, v131, v211                             // 000000009E70: 0B07A783
	v_mul_f32_e64 v4, -v132, s6                                // 000000009E74: D1050004 20000D84
	v_mul_f32_e64 v5, -v133, s6                                // 000000009E7C: D1050005 20000D85
	v_mul_f32_e64 v6, -v134, s6                                // 000000009E84: D1050006 20000D86
	v_mul_f32_e64 v7, -v135, s6                                // 000000009E8C: D1050007 20000D87
	v_exp_f32_e32 v4, v4                                       // 000000009E94: 7E084104
	v_exp_f32_e32 v5, v5                                       // 000000009E98: 7E0A4105
	v_exp_f32_e32 v6, v6                                       // 000000009E9C: 7E0C4106
	v_exp_f32_e32 v7, v7                                       // 000000009EA0: 7E0E4107
	v_add_f32_e64 v4, v4, 1.0                                  // 000000009EA4: D1010004 0001E504
	v_add_f32_e64 v5, v5, 1.0                                  // 000000009EAC: D1010005 0001E505
	v_add_f32_e64 v6, v6, 1.0                                  // 000000009EB4: D1010006 0001E506
	v_add_f32_e64 v7, v7, 1.0                                  // 000000009EBC: D1010007 0001E507
	v_rcp_f32_e32 v4, v4                                       // 000000009EC4: 7E084504
	v_rcp_f32_e32 v5, v5                                       // 000000009EC8: 7E0A4505
	v_rcp_f32_e32 v6, v6                                       // 000000009ECC: 7E0C4506
	v_rcp_f32_e32 v7, v7                                       // 000000009ED0: 7E0E4507
	v_mul_f32_e32 v132, v132, v4                               // 000000009ED4: 0B080984
	v_mul_f32_e32 v133, v133, v5                               // 000000009ED8: 0B0A0B85
	v_mul_f32_e32 v134, v134, v6                               // 000000009EDC: 0B0C0D86
	v_mul_f32_e32 v135, v135, v7                               // 000000009EE0: 0B0E0F87
	v_mul_f32_e32 v132, v132, v212                             // 000000009EE4: 0B09A984
	v_mul_f32_e32 v133, v133, v213                             // 000000009EE8: 0B0BAB85
	v_mul_f32_e32 v134, v134, v214                             // 000000009EEC: 0B0DAD86
	v_mul_f32_e32 v135, v135, v215                             // 000000009EF0: 0B0FAF87
	v_mul_f32_e64 v4, -v136, s6                                // 000000009EF4: D1050004 20000D88
	v_mul_f32_e64 v5, -v137, s6                                // 000000009EFC: D1050005 20000D89
	v_mul_f32_e64 v6, -v138, s6                                // 000000009F04: D1050006 20000D8A
	v_mul_f32_e64 v7, -v139, s6                                // 000000009F0C: D1050007 20000D8B
	v_exp_f32_e32 v4, v4                                       // 000000009F14: 7E084104
	v_exp_f32_e32 v5, v5                                       // 000000009F18: 7E0A4105
	v_exp_f32_e32 v6, v6                                       // 000000009F1C: 7E0C4106
	v_exp_f32_e32 v7, v7                                       // 000000009F20: 7E0E4107
	v_add_f32_e64 v4, v4, 1.0                                  // 000000009F24: D1010004 0001E504
	v_add_f32_e64 v5, v5, 1.0                                  // 000000009F2C: D1010005 0001E505
	v_add_f32_e64 v6, v6, 1.0                                  // 000000009F34: D1010006 0001E506
	v_add_f32_e64 v7, v7, 1.0                                  // 000000009F3C: D1010007 0001E507
	v_rcp_f32_e32 v4, v4                                       // 000000009F44: 7E084504
	v_rcp_f32_e32 v5, v5                                       // 000000009F48: 7E0A4505
	v_rcp_f32_e32 v6, v6                                       // 000000009F4C: 7E0C4506
	v_rcp_f32_e32 v7, v7                                       // 000000009F50: 7E0E4507
	v_mul_f32_e32 v136, v136, v4                               // 000000009F54: 0B100988
	v_mul_f32_e32 v137, v137, v5                               // 000000009F58: 0B120B89
	v_mul_f32_e32 v138, v138, v6                               // 000000009F5C: 0B140D8A
	v_mul_f32_e32 v139, v139, v7                               // 000000009F60: 0B160F8B
	v_mul_f32_e32 v136, v136, v216                             // 000000009F64: 0B11B188
	v_mul_f32_e32 v137, v137, v217                             // 000000009F68: 0B13B389
	v_mul_f32_e32 v138, v138, v218                             // 000000009F6C: 0B15B58A
	v_mul_f32_e32 v139, v139, v219                             // 000000009F70: 0B17B78B
	v_mul_f32_e64 v4, -v140, s6                                // 000000009F74: D1050004 20000D8C
	v_mul_f32_e64 v5, -v141, s6                                // 000000009F7C: D1050005 20000D8D
	v_mul_f32_e64 v6, -v142, s6                                // 000000009F84: D1050006 20000D8E
	v_mul_f32_e64 v7, -v143, s6                                // 000000009F8C: D1050007 20000D8F
	v_exp_f32_e32 v4, v4                                       // 000000009F94: 7E084104
	v_exp_f32_e32 v5, v5                                       // 000000009F98: 7E0A4105
	v_exp_f32_e32 v6, v6                                       // 000000009F9C: 7E0C4106
	v_exp_f32_e32 v7, v7                                       // 000000009FA0: 7E0E4107
	v_add_f32_e64 v4, v4, 1.0                                  // 000000009FA4: D1010004 0001E504
	v_add_f32_e64 v5, v5, 1.0                                  // 000000009FAC: D1010005 0001E505
	v_add_f32_e64 v6, v6, 1.0                                  // 000000009FB4: D1010006 0001E506
	v_add_f32_e64 v7, v7, 1.0                                  // 000000009FBC: D1010007 0001E507
	v_rcp_f32_e32 v4, v4                                       // 000000009FC4: 7E084504
	v_rcp_f32_e32 v5, v5                                       // 000000009FC8: 7E0A4505
	v_rcp_f32_e32 v6, v6                                       // 000000009FCC: 7E0C4506
	v_rcp_f32_e32 v7, v7                                       // 000000009FD0: 7E0E4507
	v_mul_f32_e32 v140, v140, v4                               // 000000009FD4: 0B18098C
	v_mul_f32_e32 v141, v141, v5                               // 000000009FD8: 0B1A0B8D
	v_mul_f32_e32 v142, v142, v6                               // 000000009FDC: 0B1C0D8E
	v_mul_f32_e32 v143, v143, v7                               // 000000009FE0: 0B1E0F8F
	v_mul_f32_e32 v140, v140, v220                             // 000000009FE4: 0B19B98C
	v_mul_f32_e32 v141, v141, v221                             // 000000009FE8: 0B1BBB8D
	v_mul_f32_e32 v142, v142, v222                             // 000000009FEC: 0B1DBD8E
	v_mul_f32_e32 v143, v143, v223                             // 000000009FF0: 0B1FBF8F
	v_mul_f32_e64 v4, -v144, s6                                // 000000009FF4: D1050004 20000D90
	v_mul_f32_e64 v5, -v145, s6                                // 000000009FFC: D1050005 20000D91
	v_mul_f32_e64 v6, -v146, s6                                // 00000000A004: D1050006 20000D92
	v_mul_f32_e64 v7, -v147, s6                                // 00000000A00C: D1050007 20000D93
	v_exp_f32_e32 v4, v4                                       // 00000000A014: 7E084104
	v_exp_f32_e32 v5, v5                                       // 00000000A018: 7E0A4105
	v_exp_f32_e32 v6, v6                                       // 00000000A01C: 7E0C4106
	v_exp_f32_e32 v7, v7                                       // 00000000A020: 7E0E4107
	v_add_f32_e64 v4, v4, 1.0                                  // 00000000A024: D1010004 0001E504
	v_add_f32_e64 v5, v5, 1.0                                  // 00000000A02C: D1010005 0001E505
	v_add_f32_e64 v6, v6, 1.0                                  // 00000000A034: D1010006 0001E506
	v_add_f32_e64 v7, v7, 1.0                                  // 00000000A03C: D1010007 0001E507
	v_rcp_f32_e32 v4, v4                                       // 00000000A044: 7E084504
	v_rcp_f32_e32 v5, v5                                       // 00000000A048: 7E0A4505
	v_rcp_f32_e32 v6, v6                                       // 00000000A04C: 7E0C4506
	v_rcp_f32_e32 v7, v7                                       // 00000000A050: 7E0E4507
	v_mul_f32_e32 v144, v144, v4                               // 00000000A054: 0B200990
	v_mul_f32_e32 v145, v145, v5                               // 00000000A058: 0B220B91
	v_mul_f32_e32 v146, v146, v6                               // 00000000A05C: 0B240D92
	v_mul_f32_e32 v147, v147, v7                               // 00000000A060: 0B260F93
	v_mul_f32_e32 v144, v144, v224                             // 00000000A064: 0B21C190
	v_mul_f32_e32 v145, v145, v225                             // 00000000A068: 0B23C391
	v_mul_f32_e32 v146, v146, v226                             // 00000000A06C: 0B25C592
	v_mul_f32_e32 v147, v147, v227                             // 00000000A070: 0B27C793
	v_mul_f32_e64 v4, -v148, s6                                // 00000000A074: D1050004 20000D94
	v_mul_f32_e64 v5, -v149, s6                                // 00000000A07C: D1050005 20000D95
	v_mul_f32_e64 v6, -v150, s6                                // 00000000A084: D1050006 20000D96
	v_mul_f32_e64 v7, -v151, s6                                // 00000000A08C: D1050007 20000D97
	v_exp_f32_e32 v4, v4                                       // 00000000A094: 7E084104
	v_exp_f32_e32 v5, v5                                       // 00000000A098: 7E0A4105
	v_exp_f32_e32 v6, v6                                       // 00000000A09C: 7E0C4106
	v_exp_f32_e32 v7, v7                                       // 00000000A0A0: 7E0E4107
	v_add_f32_e64 v4, v4, 1.0                                  // 00000000A0A4: D1010004 0001E504
	v_add_f32_e64 v5, v5, 1.0                                  // 00000000A0AC: D1010005 0001E505
	v_add_f32_e64 v6, v6, 1.0                                  // 00000000A0B4: D1010006 0001E506
	v_add_f32_e64 v7, v7, 1.0                                  // 00000000A0BC: D1010007 0001E507
	v_rcp_f32_e32 v4, v4                                       // 00000000A0C4: 7E084504
	v_rcp_f32_e32 v5, v5                                       // 00000000A0C8: 7E0A4505
	v_rcp_f32_e32 v6, v6                                       // 00000000A0CC: 7E0C4506
	v_rcp_f32_e32 v7, v7                                       // 00000000A0D0: 7E0E4507
	v_mul_f32_e32 v148, v148, v4                               // 00000000A0D4: 0B280994
	v_mul_f32_e32 v149, v149, v5                               // 00000000A0D8: 0B2A0B95
	v_mul_f32_e32 v150, v150, v6                               // 00000000A0DC: 0B2C0D96
	v_mul_f32_e32 v151, v151, v7                               // 00000000A0E0: 0B2E0F97
	v_mul_f32_e32 v148, v148, v228                             // 00000000A0E4: 0B29C994
	v_mul_f32_e32 v149, v149, v229                             // 00000000A0E8: 0B2BCB95
	v_mul_f32_e32 v150, v150, v230                             // 00000000A0EC: 0B2DCD96
	v_mul_f32_e32 v151, v151, v231                             // 00000000A0F0: 0B2FCF97
	v_mul_f32_e64 v4, -v152, s6                                // 00000000A0F4: D1050004 20000D98
	v_mul_f32_e64 v5, -v153, s6                                // 00000000A0FC: D1050005 20000D99
	v_mul_f32_e64 v6, -v154, s6                                // 00000000A104: D1050006 20000D9A
	v_mul_f32_e64 v7, -v155, s6                                // 00000000A10C: D1050007 20000D9B
	v_exp_f32_e32 v4, v4                                       // 00000000A114: 7E084104
	v_exp_f32_e32 v5, v5                                       // 00000000A118: 7E0A4105
	v_exp_f32_e32 v6, v6                                       // 00000000A11C: 7E0C4106
	v_exp_f32_e32 v7, v7                                       // 00000000A120: 7E0E4107
	v_add_f32_e64 v4, v4, 1.0                                  // 00000000A124: D1010004 0001E504
	v_add_f32_e64 v5, v5, 1.0                                  // 00000000A12C: D1010005 0001E505
	v_add_f32_e64 v6, v6, 1.0                                  // 00000000A134: D1010006 0001E506
	v_add_f32_e64 v7, v7, 1.0                                  // 00000000A13C: D1010007 0001E507
	v_rcp_f32_e32 v4, v4                                       // 00000000A144: 7E084504
	v_rcp_f32_e32 v5, v5                                       // 00000000A148: 7E0A4505
	v_rcp_f32_e32 v6, v6                                       // 00000000A14C: 7E0C4506
	v_rcp_f32_e32 v7, v7                                       // 00000000A150: 7E0E4507
	v_mul_f32_e32 v152, v152, v4                               // 00000000A154: 0B300998
	v_mul_f32_e32 v153, v153, v5                               // 00000000A158: 0B320B99
	v_mul_f32_e32 v154, v154, v6                               // 00000000A15C: 0B340D9A
	v_mul_f32_e32 v155, v155, v7                               // 00000000A160: 0B360F9B
	v_mul_f32_e32 v152, v152, v232                             // 00000000A164: 0B31D198
	v_mul_f32_e32 v153, v153, v233                             // 00000000A168: 0B33D399
	v_mul_f32_e32 v154, v154, v234                             // 00000000A16C: 0B35D59A
	v_mul_f32_e32 v155, v155, v235                             // 00000000A170: 0B37D79B
	v_mul_f32_e64 v4, -v156, s6                                // 00000000A174: D1050004 20000D9C
	v_mul_f32_e64 v5, -v157, s6                                // 00000000A17C: D1050005 20000D9D
	v_mul_f32_e64 v6, -v158, s6                                // 00000000A184: D1050006 20000D9E
	v_mul_f32_e64 v7, -v159, s6                                // 00000000A18C: D1050007 20000D9F
	v_exp_f32_e32 v4, v4                                       // 00000000A194: 7E084104
	v_exp_f32_e32 v5, v5                                       // 00000000A198: 7E0A4105
	v_exp_f32_e32 v6, v6                                       // 00000000A19C: 7E0C4106
	v_exp_f32_e32 v7, v7                                       // 00000000A1A0: 7E0E4107
	v_add_f32_e64 v4, v4, 1.0                                  // 00000000A1A4: D1010004 0001E504
	v_add_f32_e64 v5, v5, 1.0                                  // 00000000A1AC: D1010005 0001E505
	v_add_f32_e64 v6, v6, 1.0                                  // 00000000A1B4: D1010006 0001E506
	v_add_f32_e64 v7, v7, 1.0                                  // 00000000A1BC: D1010007 0001E507
	v_rcp_f32_e32 v4, v4                                       // 00000000A1C4: 7E084504
	v_rcp_f32_e32 v5, v5                                       // 00000000A1C8: 7E0A4505
	v_rcp_f32_e32 v6, v6                                       // 00000000A1CC: 7E0C4506
	v_rcp_f32_e32 v7, v7                                       // 00000000A1D0: 7E0E4507
	v_mul_f32_e32 v156, v156, v4                               // 00000000A1D4: 0B38099C
	v_mul_f32_e32 v157, v157, v5                               // 00000000A1D8: 0B3A0B9D
	v_mul_f32_e32 v158, v158, v6                               // 00000000A1DC: 0B3C0D9E
	v_mul_f32_e32 v159, v159, v7                               // 00000000A1E0: 0B3E0F9F
	v_mul_f32_e32 v156, v156, v236                             // 00000000A1E4: 0B39D99C
	v_mul_f32_e32 v157, v157, v237                             // 00000000A1E8: 0B3BDB9D
	v_mul_f32_e32 v158, v158, v238                             // 00000000A1EC: 0B3DDD9E
	v_mul_f32_e32 v159, v159, v239                             // 00000000A1F0: 0B3FDF9F
	v_mul_f32_e64 v4, -v160, s6                                // 00000000A1F4: D1050004 20000DA0
	v_mul_f32_e64 v5, -v161, s6                                // 00000000A1FC: D1050005 20000DA1
	v_mul_f32_e64 v6, -v162, s6                                // 00000000A204: D1050006 20000DA2
	v_mul_f32_e64 v7, -v163, s6                                // 00000000A20C: D1050007 20000DA3
	v_exp_f32_e32 v4, v4                                       // 00000000A214: 7E084104
	v_exp_f32_e32 v5, v5                                       // 00000000A218: 7E0A4105
	v_exp_f32_e32 v6, v6                                       // 00000000A21C: 7E0C4106
	v_exp_f32_e32 v7, v7                                       // 00000000A220: 7E0E4107
	v_add_f32_e64 v4, v4, 1.0                                  // 00000000A224: D1010004 0001E504
	v_add_f32_e64 v5, v5, 1.0                                  // 00000000A22C: D1010005 0001E505
	v_add_f32_e64 v6, v6, 1.0                                  // 00000000A234: D1010006 0001E506
	v_add_f32_e64 v7, v7, 1.0                                  // 00000000A23C: D1010007 0001E507
	v_rcp_f32_e32 v4, v4                                       // 00000000A244: 7E084504
	v_rcp_f32_e32 v5, v5                                       // 00000000A248: 7E0A4505
	v_rcp_f32_e32 v6, v6                                       // 00000000A24C: 7E0C4506
	v_rcp_f32_e32 v7, v7                                       // 00000000A250: 7E0E4507
	v_mul_f32_e32 v160, v160, v4                               // 00000000A254: 0B4009A0
	v_mul_f32_e32 v161, v161, v5                               // 00000000A258: 0B420BA1
	v_mul_f32_e32 v162, v162, v6                               // 00000000A25C: 0B440DA2
	v_mul_f32_e32 v163, v163, v7                               // 00000000A260: 0B460FA3
	v_mul_f32_e32 v160, v160, v240                             // 00000000A264: 0B41E1A0
	v_mul_f32_e32 v161, v161, v241                             // 00000000A268: 0B43E3A1
	v_mul_f32_e32 v162, v162, v242                             // 00000000A26C: 0B45E5A2
	v_mul_f32_e32 v163, v163, v243                             // 00000000A270: 0B47E7A3
	v_mul_f32_e64 v4, -v164, s6                                // 00000000A274: D1050004 20000DA4
	v_mul_f32_e64 v5, -v165, s6                                // 00000000A27C: D1050005 20000DA5
	v_mul_f32_e64 v6, -v166, s6                                // 00000000A284: D1050006 20000DA6
	v_mul_f32_e64 v7, -v167, s6                                // 00000000A28C: D1050007 20000DA7
	v_exp_f32_e32 v4, v4                                       // 00000000A294: 7E084104
	v_exp_f32_e32 v5, v5                                       // 00000000A298: 7E0A4105
	v_exp_f32_e32 v6, v6                                       // 00000000A29C: 7E0C4106
	v_exp_f32_e32 v7, v7                                       // 00000000A2A0: 7E0E4107
	v_add_f32_e64 v4, v4, 1.0                                  // 00000000A2A4: D1010004 0001E504
	v_add_f32_e64 v5, v5, 1.0                                  // 00000000A2AC: D1010005 0001E505
	v_add_f32_e64 v6, v6, 1.0                                  // 00000000A2B4: D1010006 0001E506
	v_add_f32_e64 v7, v7, 1.0                                  // 00000000A2BC: D1010007 0001E507
	v_rcp_f32_e32 v4, v4                                       // 00000000A2C4: 7E084504
	v_rcp_f32_e32 v5, v5                                       // 00000000A2C8: 7E0A4505
	v_rcp_f32_e32 v6, v6                                       // 00000000A2CC: 7E0C4506
	v_rcp_f32_e32 v7, v7                                       // 00000000A2D0: 7E0E4507
	v_mul_f32_e32 v164, v164, v4                               // 00000000A2D4: 0B4809A4
	v_mul_f32_e32 v165, v165, v5                               // 00000000A2D8: 0B4A0BA5
	v_mul_f32_e32 v166, v166, v6                               // 00000000A2DC: 0B4C0DA6
	v_mul_f32_e32 v167, v167, v7                               // 00000000A2E0: 0B4E0FA7
	v_mul_f32_e32 v164, v164, v244                             // 00000000A2E4: 0B49E9A4
	v_mul_f32_e32 v165, v165, v245                             // 00000000A2E8: 0B4BEBA5
	v_mul_f32_e32 v166, v166, v246                             // 00000000A2EC: 0B4DEDA6
	v_mul_f32_e32 v167, v167, v247                             // 00000000A2F0: 0B4FEFA7
	v_mul_f32_e64 v4, -v168, s6                                // 00000000A2F4: D1050004 20000DA8
	v_mul_f32_e64 v5, -v169, s6                                // 00000000A2FC: D1050005 20000DA9
	v_mul_f32_e64 v6, -v170, s6                                // 00000000A304: D1050006 20000DAA
	v_mul_f32_e64 v7, -v171, s6                                // 00000000A30C: D1050007 20000DAB
	v_exp_f32_e32 v4, v4                                       // 00000000A314: 7E084104
	v_exp_f32_e32 v5, v5                                       // 00000000A318: 7E0A4105
	v_exp_f32_e32 v6, v6                                       // 00000000A31C: 7E0C4106
	v_exp_f32_e32 v7, v7                                       // 00000000A320: 7E0E4107
	v_add_f32_e64 v4, v4, 1.0                                  // 00000000A324: D1010004 0001E504
	v_add_f32_e64 v5, v5, 1.0                                  // 00000000A32C: D1010005 0001E505
	v_add_f32_e64 v6, v6, 1.0                                  // 00000000A334: D1010006 0001E506
	v_add_f32_e64 v7, v7, 1.0                                  // 00000000A33C: D1010007 0001E507
	v_rcp_f32_e32 v4, v4                                       // 00000000A344: 7E084504
	v_rcp_f32_e32 v5, v5                                       // 00000000A348: 7E0A4505
	v_rcp_f32_e32 v6, v6                                       // 00000000A34C: 7E0C4506
	v_rcp_f32_e32 v7, v7                                       // 00000000A350: 7E0E4507
	v_mul_f32_e32 v168, v168, v4                               // 00000000A354: 0B5009A8
	v_mul_f32_e32 v169, v169, v5                               // 00000000A358: 0B520BA9
	v_mul_f32_e32 v170, v170, v6                               // 00000000A35C: 0B540DAA
	v_mul_f32_e32 v171, v171, v7                               // 00000000A360: 0B560FAB
	v_mul_f32_e32 v168, v168, v248                             // 00000000A364: 0B51F1A8
	v_mul_f32_e32 v169, v169, v249                             // 00000000A368: 0B53F3A9
	v_mul_f32_e32 v170, v170, v250                             // 00000000A36C: 0B55F5AA
	v_mul_f32_e32 v171, v171, v251                             // 00000000A370: 0B57F7AB

000000000000a374 <label_1E5D>:
	s_cmp_eq_u32 s7, 0                                         // 00000000A374: BF068007
	s_cbranch_scc0 label_1E7F                                  // 00000000A378: BF840020
	v_and_b32_e32 v4, 15, v0                                   // 00000000A37C: 2608008F
	v_lshlrev_b32_e32 v4, 2, v4                                // 00000000A380: 24080882
	buffer_load_dword v30, v4, s[12:15], 0 offen               // 00000000A384: E0501000 80031E04
	v_add_u32_e32 v4, 64, v4                                   // 00000000A38C: 680808C0
	buffer_load_dword v31, v4, s[12:15], 0 offen               // 00000000A390: E0501000 80031F04
	v_add_u32_e32 v4, 64, v4                                   // 00000000A398: 680808C0
	buffer_load_dword v32, v4, s[12:15], 0 offen               // 00000000A39C: E0501000 80032004
	v_add_u32_e32 v4, 64, v4                                   // 00000000A3A4: 680808C0
	buffer_load_dword v33, v4, s[12:15], 0 offen               // 00000000A3A8: E0501000 80032104
	v_add_u32_e32 v4, 64, v4                                   // 00000000A3B0: 680808C0
	buffer_load_dword v34, v4, s[12:15], 0 offen               // 00000000A3B4: E0501000 80032204
	v_add_u32_e32 v4, 64, v4                                   // 00000000A3BC: 680808C0
	buffer_load_dword v35, v4, s[12:15], 0 offen               // 00000000A3C0: E0501000 80032304
	v_add_u32_e32 v4, 64, v4                                   // 00000000A3C8: 680808C0
	buffer_load_dword v36, v4, s[12:15], 0 offen               // 00000000A3CC: E0501000 80032404
	v_add_u32_e32 v4, 64, v4                                   // 00000000A3D4: 680808C0
	buffer_load_dword v37, v4, s[12:15], 0 offen               // 00000000A3D8: E0501000 80032504
	v_add_u32_e32 v4, 64, v4                                   // 00000000A3E0: 680808C0
	buffer_load_dword v38, v4, s[12:15], 0 offen               // 00000000A3E4: E0501000 80032604
	v_add_u32_e32 v4, 64, v4                                   // 00000000A3EC: 680808C0
	buffer_load_dword v39, v4, s[12:15], 0 offen               // 00000000A3F0: E0501000 80032704
	v_add_u32_e32 v4, 64, v4                                   // 00000000A3F8: 680808C0

000000000000a3fc <label_1E7F>:
	v_lshlrev_b32_e32 v4, 2, v0                                // 00000000A3FC: 24080082
	s_mul_i32 s60, 0x100, s7                                   // 00000000A400: 923C07FF 00000100
	v_add_u32_e32 v182, s60, v4                                // 00000000A408: 696C083C
	v_and_b32_e32 v4, 15, v0                                   // 00000000A40C: 2608008F
	v_lshlrev_b32_e32 v183, 2, v4                              // 00000000A410: 256E0882
	s_waitcnt lgkmcnt(0)                                       // 00000000A414: BF8CC07F
	s_barrier                                                  // 00000000A418: BF8A0000
	v_mov_b32_e32 v172, 0x358637bd                             // 00000000A41C: 7F5802FF 358637BD
	v_max3_f32 v172, |v92|, |v93|, v172                        // 00000000A424: D1D303AC 06B2BB5C
	v_max3_f32 v172, |v94|, |v95|, v172                        // 00000000A42C: D1D303AC 06B2BF5E
	v_max3_f32 v172, |v132|, |v133|, v172                      // 00000000A434: D1D303AC 06B30B84
	v_max3_f32 v172, |v134|, |v135|, v172                      // 00000000A43C: D1D303AC 06B30F86
	ds_write_b32 v182, v172                                    // 00000000A444: D81A0000 0000ACB6
	s_waitcnt lgkmcnt(0)                                       // 00000000A44C: BF8CC07F
	s_barrier                                                  // 00000000A450: BF8A0000
	ds_read_b32 v4, v183                                       // 00000000A454: D86C0000 040000B7
	ds_read_b32 v5, v183 offset:64                             // 00000000A45C: D86C0040 050000B7
	ds_read_b32 v6, v183 offset:128                            // 00000000A464: D86C0080 060000B7
	ds_read_b32 v7, v183 offset:192                            // 00000000A46C: D86C00C0 070000B7
	ds_read_b32 v8, v183 offset:256                            // 00000000A474: D86C0100 080000B7
	ds_read_b32 v9, v183 offset:320                            // 00000000A47C: D86C0140 090000B7
	ds_read_b32 v10, v183 offset:384                           // 00000000A484: D86C0180 0A0000B7
	ds_read_b32 v11, v183 offset:448                           // 00000000A48C: D86C01C0 0B0000B7
	ds_read_b32 v12, v183 offset:512                           // 00000000A494: D86C0200 0C0000B7
	ds_read_b32 v13, v183 offset:576                           // 00000000A49C: D86C0240 0D0000B7
	ds_read_b32 v14, v183 offset:640                           // 00000000A4A4: D86C0280 0E0000B7
	ds_read_b32 v15, v183 offset:704                           // 00000000A4AC: D86C02C0 0F0000B7
	ds_read_b32 v16, v183 offset:768                           // 00000000A4B4: D86C0300 100000B7
	ds_read_b32 v17, v183 offset:832                           // 00000000A4BC: D86C0340 110000B7
	ds_read_b32 v18, v183 offset:896                           // 00000000A4C4: D86C0380 120000B7
	ds_read_b32 v19, v183 offset:960                           // 00000000A4CC: D86C03C0 130000B7
	s_waitcnt lgkmcnt(0)                                       // 00000000A4D4: BF8CC07F
	s_barrier                                                  // 00000000A4D8: BF8A0000
	v_max3_f32 v172, |v4|, |v5|, v172                          // 00000000A4DC: D1D303AC 06B20B04
	v_max3_f32 v172, |v6|, |v7|, v172                          // 00000000A4E4: D1D303AC 06B20F06
	v_max3_f32 v172, |v8|, |v9|, v172                          // 00000000A4EC: D1D303AC 06B21308
	v_max3_f32 v172, |v10|, |v11|, v172                        // 00000000A4F4: D1D303AC 06B2170A
	v_max3_f32 v172, |v12|, |v13|, v172                        // 00000000A4FC: D1D303AC 06B21B0C
	v_max3_f32 v172, |v14|, |v15|, v172                        // 00000000A504: D1D303AC 06B21F0E
	v_max3_f32 v172, |v16|, |v17|, v172                        // 00000000A50C: D1D303AC 06B22310
	v_max3_f32 v172, |v18|, |v19|, v172                        // 00000000A514: D1D303AC 06B22712
	v_rcp_f32_e32 v172, v172                                   // 00000000A51C: 7F5845AC
	v_mov_b32_e32 v4, 0x43700000                               // 00000000A520: 7E0802FF 43700000
	v_mul_f32_e32 v172, v4, v172                               // 00000000A528: 0B595904
	v_mov_b32_e32 v4, v172                                     // 00000000A52C: 7E0803AC
	v_mov_b32_e32 v5, v4                                       // 00000000A530: 7E0A0304
	v_pk_mul_f32 v[92:93], v[4:5], v[92:93]                    // 00000000A534: D3B1405C 1802B904
	v_pk_mul_f32 v[94:95], v[4:5], v[94:95]                    // 00000000A53C: D3B1405E 1802BD04
	v_cvt_pk_fp8_f32 v92, v92, v93                             // 00000000A544: D2A2005C 0002BB5C
	v_cvt_pk_fp8_f32 v92, v94, v95 op_sel:[0,0,1]              // 00000000A54C: D2A2405C 0002BF5E
	v_pk_mul_f32 v[132:133], v[4:5], v[132:133]                // 00000000A554: D3B14084 18030904
	v_pk_mul_f32 v[134:135], v[4:5], v[134:135]                // 00000000A55C: D3B14086 18030D04
	v_cvt_pk_fp8_f32 v132, v132, v133                          // 00000000A564: D2A20084 00030B84
	v_cvt_pk_fp8_f32 v132, v134, v135 op_sel:[0,0,1]           // 00000000A56C: D2A24084 00030F86
	v_rcp_f32_e32 v172, v172                                   // 00000000A574: 7F5845AC
	v_mov_b32_e32 v173, 0x358637bd                             // 00000000A578: 7F5A02FF 358637BD
	v_max3_f32 v173, |v96|, |v97|, v173                        // 00000000A580: D1D303AD 06B6C360
	v_max3_f32 v173, |v98|, |v99|, v173                        // 00000000A588: D1D303AD 06B6C762
	v_max3_f32 v173, |v136|, |v137|, v173                      // 00000000A590: D1D303AD 06B71388
	v_max3_f32 v173, |v138|, |v139|, v173                      // 00000000A598: D1D303AD 06B7178A
	ds_write_b32 v182, v173                                    // 00000000A5A0: D81A0000 0000ADB6
	s_waitcnt lgkmcnt(0)                                       // 00000000A5A8: BF8CC07F
	s_barrier                                                  // 00000000A5AC: BF8A0000
	ds_read_b32 v4, v183                                       // 00000000A5B0: D86C0000 040000B7
	ds_read_b32 v5, v183 offset:64                             // 00000000A5B8: D86C0040 050000B7
	ds_read_b32 v6, v183 offset:128                            // 00000000A5C0: D86C0080 060000B7
	ds_read_b32 v7, v183 offset:192                            // 00000000A5C8: D86C00C0 070000B7
	ds_read_b32 v8, v183 offset:256                            // 00000000A5D0: D86C0100 080000B7
	ds_read_b32 v9, v183 offset:320                            // 00000000A5D8: D86C0140 090000B7
	ds_read_b32 v10, v183 offset:384                           // 00000000A5E0: D86C0180 0A0000B7
	ds_read_b32 v11, v183 offset:448                           // 00000000A5E8: D86C01C0 0B0000B7
	ds_read_b32 v12, v183 offset:512                           // 00000000A5F0: D86C0200 0C0000B7
	ds_read_b32 v13, v183 offset:576                           // 00000000A5F8: D86C0240 0D0000B7
	ds_read_b32 v14, v183 offset:640                           // 00000000A600: D86C0280 0E0000B7
	ds_read_b32 v15, v183 offset:704                           // 00000000A608: D86C02C0 0F0000B7
	ds_read_b32 v16, v183 offset:768                           // 00000000A610: D86C0300 100000B7
	ds_read_b32 v17, v183 offset:832                           // 00000000A618: D86C0340 110000B7
	ds_read_b32 v18, v183 offset:896                           // 00000000A620: D86C0380 120000B7
	ds_read_b32 v19, v183 offset:960                           // 00000000A628: D86C03C0 130000B7
	s_waitcnt lgkmcnt(0)                                       // 00000000A630: BF8CC07F
	s_barrier                                                  // 00000000A634: BF8A0000
	v_max3_f32 v173, |v4|, |v5|, v173                          // 00000000A638: D1D303AD 06B60B04
	v_max3_f32 v173, |v6|, |v7|, v173                          // 00000000A640: D1D303AD 06B60F06
	v_max3_f32 v173, |v8|, |v9|, v173                          // 00000000A648: D1D303AD 06B61308
	v_max3_f32 v173, |v10|, |v11|, v173                        // 00000000A650: D1D303AD 06B6170A
	v_max3_f32 v173, |v12|, |v13|, v173                        // 00000000A658: D1D303AD 06B61B0C
	v_max3_f32 v173, |v14|, |v15|, v173                        // 00000000A660: D1D303AD 06B61F0E
	v_max3_f32 v173, |v16|, |v17|, v173                        // 00000000A668: D1D303AD 06B62310
	v_max3_f32 v173, |v18|, |v19|, v173                        // 00000000A670: D1D303AD 06B62712
	v_rcp_f32_e32 v173, v173                                   // 00000000A678: 7F5A45AD
	v_mov_b32_e32 v4, 0x43700000                               // 00000000A67C: 7E0802FF 43700000
	v_mul_f32_e32 v173, v4, v173                               // 00000000A684: 0B5B5B04
	v_mov_b32_e32 v4, v173                                     // 00000000A688: 7E0803AD
	v_mov_b32_e32 v5, v4                                       // 00000000A68C: 7E0A0304
	v_pk_mul_f32 v[96:97], v[4:5], v[96:97]                    // 00000000A690: D3B14060 1802C104
	v_pk_mul_f32 v[98:99], v[4:5], v[98:99]                    // 00000000A698: D3B14062 1802C504
	v_cvt_pk_fp8_f32 v96, v96, v97                             // 00000000A6A0: D2A20060 0002C360
	v_cvt_pk_fp8_f32 v96, v98, v99 op_sel:[0,0,1]              // 00000000A6A8: D2A24060 0002C762
	v_pk_mul_f32 v[136:137], v[4:5], v[136:137]                // 00000000A6B0: D3B14088 18031104
	v_pk_mul_f32 v[138:139], v[4:5], v[138:139]                // 00000000A6B8: D3B1408A 18031504
	v_cvt_pk_fp8_f32 v136, v136, v137                          // 00000000A6C0: D2A20088 00031388
	v_cvt_pk_fp8_f32 v136, v138, v139 op_sel:[0,0,1]           // 00000000A6C8: D2A24088 0003178A
	v_rcp_f32_e32 v173, v173                                   // 00000000A6D0: 7F5A45AD
	v_mov_b32_e32 v174, 0x358637bd                             // 00000000A6D4: 7F5C02FF 358637BD
	v_max3_f32 v174, |v100|, |v101|, v174                      // 00000000A6DC: D1D303AE 06BACB64
	v_max3_f32 v174, |v102|, |v103|, v174                      // 00000000A6E4: D1D303AE 06BACF66
	v_max3_f32 v174, |v140|, |v141|, v174                      // 00000000A6EC: D1D303AE 06BB1B8C
	v_max3_f32 v174, |v142|, |v143|, v174                      // 00000000A6F4: D1D303AE 06BB1F8E
	ds_write_b32 v182, v174                                    // 00000000A6FC: D81A0000 0000AEB6
	s_waitcnt lgkmcnt(0)                                       // 00000000A704: BF8CC07F
	s_barrier                                                  // 00000000A708: BF8A0000
	ds_read_b32 v4, v183                                       // 00000000A70C: D86C0000 040000B7
	ds_read_b32 v5, v183 offset:64                             // 00000000A714: D86C0040 050000B7
	ds_read_b32 v6, v183 offset:128                            // 00000000A71C: D86C0080 060000B7
	ds_read_b32 v7, v183 offset:192                            // 00000000A724: D86C00C0 070000B7
	ds_read_b32 v8, v183 offset:256                            // 00000000A72C: D86C0100 080000B7
	ds_read_b32 v9, v183 offset:320                            // 00000000A734: D86C0140 090000B7
	ds_read_b32 v10, v183 offset:384                           // 00000000A73C: D86C0180 0A0000B7
	ds_read_b32 v11, v183 offset:448                           // 00000000A744: D86C01C0 0B0000B7
	ds_read_b32 v12, v183 offset:512                           // 00000000A74C: D86C0200 0C0000B7
	ds_read_b32 v13, v183 offset:576                           // 00000000A754: D86C0240 0D0000B7
	ds_read_b32 v14, v183 offset:640                           // 00000000A75C: D86C0280 0E0000B7
	ds_read_b32 v15, v183 offset:704                           // 00000000A764: D86C02C0 0F0000B7
	ds_read_b32 v16, v183 offset:768                           // 00000000A76C: D86C0300 100000B7
	ds_read_b32 v17, v183 offset:832                           // 00000000A774: D86C0340 110000B7
	ds_read_b32 v18, v183 offset:896                           // 00000000A77C: D86C0380 120000B7
	ds_read_b32 v19, v183 offset:960                           // 00000000A784: D86C03C0 130000B7
	s_waitcnt lgkmcnt(0)                                       // 00000000A78C: BF8CC07F
	s_barrier                                                  // 00000000A790: BF8A0000
	v_max3_f32 v174, |v4|, |v5|, v174                          // 00000000A794: D1D303AE 06BA0B04
	v_max3_f32 v174, |v6|, |v7|, v174                          // 00000000A79C: D1D303AE 06BA0F06
	v_max3_f32 v174, |v8|, |v9|, v174                          // 00000000A7A4: D1D303AE 06BA1308
	v_max3_f32 v174, |v10|, |v11|, v174                        // 00000000A7AC: D1D303AE 06BA170A
	v_max3_f32 v174, |v12|, |v13|, v174                        // 00000000A7B4: D1D303AE 06BA1B0C
	v_max3_f32 v174, |v14|, |v15|, v174                        // 00000000A7BC: D1D303AE 06BA1F0E
	v_max3_f32 v174, |v16|, |v17|, v174                        // 00000000A7C4: D1D303AE 06BA2310
	v_max3_f32 v174, |v18|, |v19|, v174                        // 00000000A7CC: D1D303AE 06BA2712
	v_rcp_f32_e32 v174, v174                                   // 00000000A7D4: 7F5C45AE
	v_mov_b32_e32 v4, 0x43700000                               // 00000000A7D8: 7E0802FF 43700000
	v_mul_f32_e32 v174, v4, v174                               // 00000000A7E0: 0B5D5D04
	v_mov_b32_e32 v4, v174                                     // 00000000A7E4: 7E0803AE
	v_mov_b32_e32 v5, v4                                       // 00000000A7E8: 7E0A0304
	v_pk_mul_f32 v[100:101], v[4:5], v[100:101]                // 00000000A7EC: D3B14064 1802C904
	v_pk_mul_f32 v[102:103], v[4:5], v[102:103]                // 00000000A7F4: D3B14066 1802CD04
	v_cvt_pk_fp8_f32 v100, v100, v101                          // 00000000A7FC: D2A20064 0002CB64
	v_cvt_pk_fp8_f32 v100, v102, v103 op_sel:[0,0,1]           // 00000000A804: D2A24064 0002CF66
	v_pk_mul_f32 v[140:141], v[4:5], v[140:141]                // 00000000A80C: D3B1408C 18031904
	v_pk_mul_f32 v[142:143], v[4:5], v[142:143]                // 00000000A814: D3B1408E 18031D04
	v_cvt_pk_fp8_f32 v140, v140, v141                          // 00000000A81C: D2A2008C 00031B8C
	v_cvt_pk_fp8_f32 v140, v142, v143 op_sel:[0,0,1]           // 00000000A824: D2A2408C 00031F8E
	v_rcp_f32_e32 v174, v174                                   // 00000000A82C: 7F5C45AE
	v_mov_b32_e32 v175, 0x358637bd                             // 00000000A830: 7F5E02FF 358637BD
	v_max3_f32 v175, |v104|, |v105|, v175                      // 00000000A838: D1D303AF 06BED368
	v_max3_f32 v175, |v106|, |v107|, v175                      // 00000000A840: D1D303AF 06BED76A
	v_max3_f32 v175, |v144|, |v145|, v175                      // 00000000A848: D1D303AF 06BF2390
	v_max3_f32 v175, |v146|, |v147|, v175                      // 00000000A850: D1D303AF 06BF2792
	ds_write_b32 v182, v175                                    // 00000000A858: D81A0000 0000AFB6
	s_waitcnt lgkmcnt(0)                                       // 00000000A860: BF8CC07F
	s_barrier                                                  // 00000000A864: BF8A0000
	ds_read_b32 v4, v183                                       // 00000000A868: D86C0000 040000B7
	ds_read_b32 v5, v183 offset:64                             // 00000000A870: D86C0040 050000B7
	ds_read_b32 v6, v183 offset:128                            // 00000000A878: D86C0080 060000B7
	ds_read_b32 v7, v183 offset:192                            // 00000000A880: D86C00C0 070000B7
	ds_read_b32 v8, v183 offset:256                            // 00000000A888: D86C0100 080000B7
	ds_read_b32 v9, v183 offset:320                            // 00000000A890: D86C0140 090000B7
	ds_read_b32 v10, v183 offset:384                           // 00000000A898: D86C0180 0A0000B7
	ds_read_b32 v11, v183 offset:448                           // 00000000A8A0: D86C01C0 0B0000B7
	ds_read_b32 v12, v183 offset:512                           // 00000000A8A8: D86C0200 0C0000B7
	ds_read_b32 v13, v183 offset:576                           // 00000000A8B0: D86C0240 0D0000B7
	ds_read_b32 v14, v183 offset:640                           // 00000000A8B8: D86C0280 0E0000B7
	ds_read_b32 v15, v183 offset:704                           // 00000000A8C0: D86C02C0 0F0000B7
	ds_read_b32 v16, v183 offset:768                           // 00000000A8C8: D86C0300 100000B7
	ds_read_b32 v17, v183 offset:832                           // 00000000A8D0: D86C0340 110000B7
	ds_read_b32 v18, v183 offset:896                           // 00000000A8D8: D86C0380 120000B7
	ds_read_b32 v19, v183 offset:960                           // 00000000A8E0: D86C03C0 130000B7
	s_waitcnt lgkmcnt(0)                                       // 00000000A8E8: BF8CC07F
	s_barrier                                                  // 00000000A8EC: BF8A0000
	v_max3_f32 v175, |v4|, |v5|, v175                          // 00000000A8F0: D1D303AF 06BE0B04
	v_max3_f32 v175, |v6|, |v7|, v175                          // 00000000A8F8: D1D303AF 06BE0F06
	v_max3_f32 v175, |v8|, |v9|, v175                          // 00000000A900: D1D303AF 06BE1308
	v_max3_f32 v175, |v10|, |v11|, v175                        // 00000000A908: D1D303AF 06BE170A
	v_max3_f32 v175, |v12|, |v13|, v175                        // 00000000A910: D1D303AF 06BE1B0C
	v_max3_f32 v175, |v14|, |v15|, v175                        // 00000000A918: D1D303AF 06BE1F0E
	v_max3_f32 v175, |v16|, |v17|, v175                        // 00000000A920: D1D303AF 06BE2310
	v_max3_f32 v175, |v18|, |v19|, v175                        // 00000000A928: D1D303AF 06BE2712
	v_rcp_f32_e32 v175, v175                                   // 00000000A930: 7F5E45AF
	v_mov_b32_e32 v4, 0x43700000                               // 00000000A934: 7E0802FF 43700000
	v_mul_f32_e32 v175, v4, v175                               // 00000000A93C: 0B5F5F04
	v_mov_b32_e32 v4, v175                                     // 00000000A940: 7E0803AF
	v_mov_b32_e32 v5, v4                                       // 00000000A944: 7E0A0304
	v_pk_mul_f32 v[104:105], v[4:5], v[104:105]                // 00000000A948: D3B14068 1802D104
	v_pk_mul_f32 v[106:107], v[4:5], v[106:107]                // 00000000A950: D3B1406A 1802D504
	v_cvt_pk_fp8_f32 v104, v104, v105                          // 00000000A958: D2A20068 0002D368
	v_cvt_pk_fp8_f32 v104, v106, v107 op_sel:[0,0,1]           // 00000000A960: D2A24068 0002D76A
	v_pk_mul_f32 v[144:145], v[4:5], v[144:145]                // 00000000A968: D3B14090 18032104
	v_pk_mul_f32 v[146:147], v[4:5], v[146:147]                // 00000000A970: D3B14092 18032504
	v_cvt_pk_fp8_f32 v144, v144, v145                          // 00000000A978: D2A20090 00032390
	v_cvt_pk_fp8_f32 v144, v146, v147 op_sel:[0,0,1]           // 00000000A980: D2A24090 00032792
	v_rcp_f32_e32 v175, v175                                   // 00000000A988: 7F5E45AF
	v_mov_b32_e32 v176, 0x358637bd                             // 00000000A98C: 7F6002FF 358637BD
	v_max3_f32 v176, |v108|, |v109|, v176                      // 00000000A994: D1D303B0 06C2DB6C
	v_max3_f32 v176, |v110|, |v111|, v176                      // 00000000A99C: D1D303B0 06C2DF6E
	v_max3_f32 v176, |v148|, |v149|, v176                      // 00000000A9A4: D1D303B0 06C32B94
	v_max3_f32 v176, |v150|, |v151|, v176                      // 00000000A9AC: D1D303B0 06C32F96
	ds_write_b32 v182, v176                                    // 00000000A9B4: D81A0000 0000B0B6
	s_waitcnt lgkmcnt(0)                                       // 00000000A9BC: BF8CC07F
	s_barrier                                                  // 00000000A9C0: BF8A0000
	ds_read_b32 v4, v183                                       // 00000000A9C4: D86C0000 040000B7
	ds_read_b32 v5, v183 offset:64                             // 00000000A9CC: D86C0040 050000B7
	ds_read_b32 v6, v183 offset:128                            // 00000000A9D4: D86C0080 060000B7
	ds_read_b32 v7, v183 offset:192                            // 00000000A9DC: D86C00C0 070000B7
	ds_read_b32 v8, v183 offset:256                            // 00000000A9E4: D86C0100 080000B7
	ds_read_b32 v9, v183 offset:320                            // 00000000A9EC: D86C0140 090000B7
	ds_read_b32 v10, v183 offset:384                           // 00000000A9F4: D86C0180 0A0000B7
	ds_read_b32 v11, v183 offset:448                           // 00000000A9FC: D86C01C0 0B0000B7
	ds_read_b32 v12, v183 offset:512                           // 00000000AA04: D86C0200 0C0000B7
	ds_read_b32 v13, v183 offset:576                           // 00000000AA0C: D86C0240 0D0000B7
	ds_read_b32 v14, v183 offset:640                           // 00000000AA14: D86C0280 0E0000B7
	ds_read_b32 v15, v183 offset:704                           // 00000000AA1C: D86C02C0 0F0000B7
	ds_read_b32 v16, v183 offset:768                           // 00000000AA24: D86C0300 100000B7
	ds_read_b32 v17, v183 offset:832                           // 00000000AA2C: D86C0340 110000B7
	ds_read_b32 v18, v183 offset:896                           // 00000000AA34: D86C0380 120000B7
	ds_read_b32 v19, v183 offset:960                           // 00000000AA3C: D86C03C0 130000B7
	s_waitcnt lgkmcnt(0)                                       // 00000000AA44: BF8CC07F
	s_barrier                                                  // 00000000AA48: BF8A0000
	v_max3_f32 v176, |v4|, |v5|, v176                          // 00000000AA4C: D1D303B0 06C20B04
	v_max3_f32 v176, |v6|, |v7|, v176                          // 00000000AA54: D1D303B0 06C20F06
	v_max3_f32 v176, |v8|, |v9|, v176                          // 00000000AA5C: D1D303B0 06C21308
	v_max3_f32 v176, |v10|, |v11|, v176                        // 00000000AA64: D1D303B0 06C2170A
	v_max3_f32 v176, |v12|, |v13|, v176                        // 00000000AA6C: D1D303B0 06C21B0C
	v_max3_f32 v176, |v14|, |v15|, v176                        // 00000000AA74: D1D303B0 06C21F0E
	v_max3_f32 v176, |v16|, |v17|, v176                        // 00000000AA7C: D1D303B0 06C22310
	v_max3_f32 v176, |v18|, |v19|, v176                        // 00000000AA84: D1D303B0 06C22712
	v_rcp_f32_e32 v176, v176                                   // 00000000AA8C: 7F6045B0
	v_mov_b32_e32 v4, 0x43700000                               // 00000000AA90: 7E0802FF 43700000
	v_mul_f32_e32 v176, v4, v176                               // 00000000AA98: 0B616104
	v_mov_b32_e32 v4, v176                                     // 00000000AA9C: 7E0803B0
	v_mov_b32_e32 v5, v4                                       // 00000000AAA0: 7E0A0304
	v_pk_mul_f32 v[108:109], v[4:5], v[108:109]                // 00000000AAA4: D3B1406C 1802D904
	v_pk_mul_f32 v[110:111], v[4:5], v[110:111]                // 00000000AAAC: D3B1406E 1802DD04
	v_cvt_pk_fp8_f32 v108, v108, v109                          // 00000000AAB4: D2A2006C 0002DB6C
	v_cvt_pk_fp8_f32 v108, v110, v111 op_sel:[0,0,1]           // 00000000AABC: D2A2406C 0002DF6E
	v_pk_mul_f32 v[148:149], v[4:5], v[148:149]                // 00000000AAC4: D3B14094 18032904
	v_pk_mul_f32 v[150:151], v[4:5], v[150:151]                // 00000000AACC: D3B14096 18032D04
	v_cvt_pk_fp8_f32 v148, v148, v149                          // 00000000AAD4: D2A20094 00032B94
	v_cvt_pk_fp8_f32 v148, v150, v151 op_sel:[0,0,1]           // 00000000AADC: D2A24094 00032F96
	v_rcp_f32_e32 v176, v176                                   // 00000000AAE4: 7F6045B0
	v_mov_b32_e32 v177, 0x358637bd                             // 00000000AAE8: 7F6202FF 358637BD
	v_max3_f32 v177, |v112|, |v113|, v177                      // 00000000AAF0: D1D303B1 06C6E370
	v_max3_f32 v177, |v114|, |v115|, v177                      // 00000000AAF8: D1D303B1 06C6E772
	v_max3_f32 v177, |v152|, |v153|, v177                      // 00000000AB00: D1D303B1 06C73398
	v_max3_f32 v177, |v154|, |v155|, v177                      // 00000000AB08: D1D303B1 06C7379A
	ds_write_b32 v182, v177                                    // 00000000AB10: D81A0000 0000B1B6
	s_waitcnt lgkmcnt(0)                                       // 00000000AB18: BF8CC07F
	s_barrier                                                  // 00000000AB1C: BF8A0000
	ds_read_b32 v4, v183                                       // 00000000AB20: D86C0000 040000B7
	ds_read_b32 v5, v183 offset:64                             // 00000000AB28: D86C0040 050000B7
	ds_read_b32 v6, v183 offset:128                            // 00000000AB30: D86C0080 060000B7
	ds_read_b32 v7, v183 offset:192                            // 00000000AB38: D86C00C0 070000B7
	ds_read_b32 v8, v183 offset:256                            // 00000000AB40: D86C0100 080000B7
	ds_read_b32 v9, v183 offset:320                            // 00000000AB48: D86C0140 090000B7
	ds_read_b32 v10, v183 offset:384                           // 00000000AB50: D86C0180 0A0000B7
	ds_read_b32 v11, v183 offset:448                           // 00000000AB58: D86C01C0 0B0000B7
	ds_read_b32 v12, v183 offset:512                           // 00000000AB60: D86C0200 0C0000B7
	ds_read_b32 v13, v183 offset:576                           // 00000000AB68: D86C0240 0D0000B7
	ds_read_b32 v14, v183 offset:640                           // 00000000AB70: D86C0280 0E0000B7
	ds_read_b32 v15, v183 offset:704                           // 00000000AB78: D86C02C0 0F0000B7
	ds_read_b32 v16, v183 offset:768                           // 00000000AB80: D86C0300 100000B7
	ds_read_b32 v17, v183 offset:832                           // 00000000AB88: D86C0340 110000B7
	ds_read_b32 v18, v183 offset:896                           // 00000000AB90: D86C0380 120000B7
	ds_read_b32 v19, v183 offset:960                           // 00000000AB98: D86C03C0 130000B7
	s_waitcnt lgkmcnt(0)                                       // 00000000ABA0: BF8CC07F
	s_barrier                                                  // 00000000ABA4: BF8A0000
	v_max3_f32 v177, |v4|, |v5|, v177                          // 00000000ABA8: D1D303B1 06C60B04
	v_max3_f32 v177, |v6|, |v7|, v177                          // 00000000ABB0: D1D303B1 06C60F06
	v_max3_f32 v177, |v8|, |v9|, v177                          // 00000000ABB8: D1D303B1 06C61308
	v_max3_f32 v177, |v10|, |v11|, v177                        // 00000000ABC0: D1D303B1 06C6170A
	v_max3_f32 v177, |v12|, |v13|, v177                        // 00000000ABC8: D1D303B1 06C61B0C
	v_max3_f32 v177, |v14|, |v15|, v177                        // 00000000ABD0: D1D303B1 06C61F0E
	v_max3_f32 v177, |v16|, |v17|, v177                        // 00000000ABD8: D1D303B1 06C62310
	v_max3_f32 v177, |v18|, |v19|, v177                        // 00000000ABE0: D1D303B1 06C62712
	v_rcp_f32_e32 v177, v177                                   // 00000000ABE8: 7F6245B1
	v_mov_b32_e32 v4, 0x43700000                               // 00000000ABEC: 7E0802FF 43700000
	v_mul_f32_e32 v177, v4, v177                               // 00000000ABF4: 0B636304
	v_mov_b32_e32 v4, v177                                     // 00000000ABF8: 7E0803B1
	v_mov_b32_e32 v5, v4                                       // 00000000ABFC: 7E0A0304
	v_pk_mul_f32 v[112:113], v[4:5], v[112:113]                // 00000000AC00: D3B14070 1802E104
	v_pk_mul_f32 v[114:115], v[4:5], v[114:115]                // 00000000AC08: D3B14072 1802E504
	v_cvt_pk_fp8_f32 v112, v112, v113                          // 00000000AC10: D2A20070 0002E370
	v_cvt_pk_fp8_f32 v112, v114, v115 op_sel:[0,0,1]           // 00000000AC18: D2A24070 0002E772
	v_pk_mul_f32 v[152:153], v[4:5], v[152:153]                // 00000000AC20: D3B14098 18033104
	v_pk_mul_f32 v[154:155], v[4:5], v[154:155]                // 00000000AC28: D3B1409A 18033504
	v_cvt_pk_fp8_f32 v152, v152, v153                          // 00000000AC30: D2A20098 00033398
	v_cvt_pk_fp8_f32 v152, v154, v155 op_sel:[0,0,1]           // 00000000AC38: D2A24098 0003379A
	v_rcp_f32_e32 v177, v177                                   // 00000000AC40: 7F6245B1
	v_mov_b32_e32 v178, 0x358637bd                             // 00000000AC44: 7F6402FF 358637BD
	v_max3_f32 v178, |v116|, |v117|, v178                      // 00000000AC4C: D1D303B2 06CAEB74
	v_max3_f32 v178, |v118|, |v119|, v178                      // 00000000AC54: D1D303B2 06CAEF76
	v_max3_f32 v178, |v156|, |v157|, v178                      // 00000000AC5C: D1D303B2 06CB3B9C
	v_max3_f32 v178, |v158|, |v159|, v178                      // 00000000AC64: D1D303B2 06CB3F9E
	ds_write_b32 v182, v178                                    // 00000000AC6C: D81A0000 0000B2B6
	s_waitcnt lgkmcnt(0)                                       // 00000000AC74: BF8CC07F
	s_barrier                                                  // 00000000AC78: BF8A0000
	ds_read_b32 v4, v183                                       // 00000000AC7C: D86C0000 040000B7
	ds_read_b32 v5, v183 offset:64                             // 00000000AC84: D86C0040 050000B7
	ds_read_b32 v6, v183 offset:128                            // 00000000AC8C: D86C0080 060000B7
	ds_read_b32 v7, v183 offset:192                            // 00000000AC94: D86C00C0 070000B7
	ds_read_b32 v8, v183 offset:256                            // 00000000AC9C: D86C0100 080000B7
	ds_read_b32 v9, v183 offset:320                            // 00000000ACA4: D86C0140 090000B7
	ds_read_b32 v10, v183 offset:384                           // 00000000ACAC: D86C0180 0A0000B7
	ds_read_b32 v11, v183 offset:448                           // 00000000ACB4: D86C01C0 0B0000B7
	ds_read_b32 v12, v183 offset:512                           // 00000000ACBC: D86C0200 0C0000B7
	ds_read_b32 v13, v183 offset:576                           // 00000000ACC4: D86C0240 0D0000B7
	ds_read_b32 v14, v183 offset:640                           // 00000000ACCC: D86C0280 0E0000B7
	ds_read_b32 v15, v183 offset:704                           // 00000000ACD4: D86C02C0 0F0000B7
	ds_read_b32 v16, v183 offset:768                           // 00000000ACDC: D86C0300 100000B7
	ds_read_b32 v17, v183 offset:832                           // 00000000ACE4: D86C0340 110000B7
	ds_read_b32 v18, v183 offset:896                           // 00000000ACEC: D86C0380 120000B7
	ds_read_b32 v19, v183 offset:960                           // 00000000ACF4: D86C03C0 130000B7
	s_waitcnt lgkmcnt(0)                                       // 00000000ACFC: BF8CC07F
	s_barrier                                                  // 00000000AD00: BF8A0000
	v_max3_f32 v178, |v4|, |v5|, v178                          // 00000000AD04: D1D303B2 06CA0B04
	v_max3_f32 v178, |v6|, |v7|, v178                          // 00000000AD0C: D1D303B2 06CA0F06
	v_max3_f32 v178, |v8|, |v9|, v178                          // 00000000AD14: D1D303B2 06CA1308
	v_max3_f32 v178, |v10|, |v11|, v178                        // 00000000AD1C: D1D303B2 06CA170A
	v_max3_f32 v178, |v12|, |v13|, v178                        // 00000000AD24: D1D303B2 06CA1B0C
	v_max3_f32 v178, |v14|, |v15|, v178                        // 00000000AD2C: D1D303B2 06CA1F0E
	v_max3_f32 v178, |v16|, |v17|, v178                        // 00000000AD34: D1D303B2 06CA2310
	v_max3_f32 v178, |v18|, |v19|, v178                        // 00000000AD3C: D1D303B2 06CA2712
	v_rcp_f32_e32 v178, v178                                   // 00000000AD44: 7F6445B2
	v_mov_b32_e32 v4, 0x43700000                               // 00000000AD48: 7E0802FF 43700000
	v_mul_f32_e32 v178, v4, v178                               // 00000000AD50: 0B656504
	v_mov_b32_e32 v4, v178                                     // 00000000AD54: 7E0803B2
	v_mov_b32_e32 v5, v4                                       // 00000000AD58: 7E0A0304
	v_pk_mul_f32 v[116:117], v[4:5], v[116:117]                // 00000000AD5C: D3B14074 1802E904
	v_pk_mul_f32 v[118:119], v[4:5], v[118:119]                // 00000000AD64: D3B14076 1802ED04
	v_cvt_pk_fp8_f32 v116, v116, v117                          // 00000000AD6C: D2A20074 0002EB74
	v_cvt_pk_fp8_f32 v116, v118, v119 op_sel:[0,0,1]           // 00000000AD74: D2A24074 0002EF76
	v_pk_mul_f32 v[156:157], v[4:5], v[156:157]                // 00000000AD7C: D3B1409C 18033904
	v_pk_mul_f32 v[158:159], v[4:5], v[158:159]                // 00000000AD84: D3B1409E 18033D04
	v_cvt_pk_fp8_f32 v156, v156, v157                          // 00000000AD8C: D2A2009C 00033B9C
	v_cvt_pk_fp8_f32 v156, v158, v159 op_sel:[0,0,1]           // 00000000AD94: D2A2409C 00033F9E
	v_rcp_f32_e32 v178, v178                                   // 00000000AD9C: 7F6445B2
	v_mov_b32_e32 v179, 0x358637bd                             // 00000000ADA0: 7F6602FF 358637BD
	v_max3_f32 v179, |v120|, |v121|, v179                      // 00000000ADA8: D1D303B3 06CEF378
	v_max3_f32 v179, |v122|, |v123|, v179                      // 00000000ADB0: D1D303B3 06CEF77A
	v_max3_f32 v179, |v160|, |v161|, v179                      // 00000000ADB8: D1D303B3 06CF43A0
	v_max3_f32 v179, |v162|, |v163|, v179                      // 00000000ADC0: D1D303B3 06CF47A2
	ds_write_b32 v182, v179                                    // 00000000ADC8: D81A0000 0000B3B6
	s_waitcnt lgkmcnt(0)                                       // 00000000ADD0: BF8CC07F
	s_barrier                                                  // 00000000ADD4: BF8A0000
	ds_read_b32 v4, v183                                       // 00000000ADD8: D86C0000 040000B7
	ds_read_b32 v5, v183 offset:64                             // 00000000ADE0: D86C0040 050000B7
	ds_read_b32 v6, v183 offset:128                            // 00000000ADE8: D86C0080 060000B7
	ds_read_b32 v7, v183 offset:192                            // 00000000ADF0: D86C00C0 070000B7
	ds_read_b32 v8, v183 offset:256                            // 00000000ADF8: D86C0100 080000B7
	ds_read_b32 v9, v183 offset:320                            // 00000000AE00: D86C0140 090000B7
	ds_read_b32 v10, v183 offset:384                           // 00000000AE08: D86C0180 0A0000B7
	ds_read_b32 v11, v183 offset:448                           // 00000000AE10: D86C01C0 0B0000B7
	ds_read_b32 v12, v183 offset:512                           // 00000000AE18: D86C0200 0C0000B7
	ds_read_b32 v13, v183 offset:576                           // 00000000AE20: D86C0240 0D0000B7
	ds_read_b32 v14, v183 offset:640                           // 00000000AE28: D86C0280 0E0000B7
	ds_read_b32 v15, v183 offset:704                           // 00000000AE30: D86C02C0 0F0000B7
	ds_read_b32 v16, v183 offset:768                           // 00000000AE38: D86C0300 100000B7
	ds_read_b32 v17, v183 offset:832                           // 00000000AE40: D86C0340 110000B7
	ds_read_b32 v18, v183 offset:896                           // 00000000AE48: D86C0380 120000B7
	ds_read_b32 v19, v183 offset:960                           // 00000000AE50: D86C03C0 130000B7
	s_waitcnt lgkmcnt(0)                                       // 00000000AE58: BF8CC07F
	s_barrier                                                  // 00000000AE5C: BF8A0000
	v_max3_f32 v179, |v4|, |v5|, v179                          // 00000000AE60: D1D303B3 06CE0B04
	v_max3_f32 v179, |v6|, |v7|, v179                          // 00000000AE68: D1D303B3 06CE0F06
	v_max3_f32 v179, |v8|, |v9|, v179                          // 00000000AE70: D1D303B3 06CE1308
	v_max3_f32 v179, |v10|, |v11|, v179                        // 00000000AE78: D1D303B3 06CE170A
	v_max3_f32 v179, |v12|, |v13|, v179                        // 00000000AE80: D1D303B3 06CE1B0C
	v_max3_f32 v179, |v14|, |v15|, v179                        // 00000000AE88: D1D303B3 06CE1F0E
	v_max3_f32 v179, |v16|, |v17|, v179                        // 00000000AE90: D1D303B3 06CE2310
	v_max3_f32 v179, |v18|, |v19|, v179                        // 00000000AE98: D1D303B3 06CE2712
	v_rcp_f32_e32 v179, v179                                   // 00000000AEA0: 7F6645B3
	v_mov_b32_e32 v4, 0x43700000                               // 00000000AEA4: 7E0802FF 43700000
	v_mul_f32_e32 v179, v4, v179                               // 00000000AEAC: 0B676704
	v_mov_b32_e32 v4, v179                                     // 00000000AEB0: 7E0803B3
	v_mov_b32_e32 v5, v4                                       // 00000000AEB4: 7E0A0304
	v_pk_mul_f32 v[120:121], v[4:5], v[120:121]                // 00000000AEB8: D3B14078 1802F104
	v_pk_mul_f32 v[122:123], v[4:5], v[122:123]                // 00000000AEC0: D3B1407A 1802F504
	v_cvt_pk_fp8_f32 v120, v120, v121                          // 00000000AEC8: D2A20078 0002F378
	v_cvt_pk_fp8_f32 v120, v122, v123 op_sel:[0,0,1]           // 00000000AED0: D2A24078 0002F77A
	v_pk_mul_f32 v[160:161], v[4:5], v[160:161]                // 00000000AED8: D3B140A0 18034104
	v_pk_mul_f32 v[162:163], v[4:5], v[162:163]                // 00000000AEE0: D3B140A2 18034504
	v_cvt_pk_fp8_f32 v160, v160, v161                          // 00000000AEE8: D2A200A0 000343A0
	v_cvt_pk_fp8_f32 v160, v162, v163 op_sel:[0,0,1]           // 00000000AEF0: D2A240A0 000347A2
	v_rcp_f32_e32 v179, v179                                   // 00000000AEF8: 7F6645B3
	v_mov_b32_e32 v180, 0x358637bd                             // 00000000AEFC: 7F6802FF 358637BD
	v_max3_f32 v180, |v124|, |v125|, v180                      // 00000000AF04: D1D303B4 06D2FB7C
	v_max3_f32 v180, |v126|, |v127|, v180                      // 00000000AF0C: D1D303B4 06D2FF7E
	v_max3_f32 v180, |v164|, |v165|, v180                      // 00000000AF14: D1D303B4 06D34BA4
	v_max3_f32 v180, |v166|, |v167|, v180                      // 00000000AF1C: D1D303B4 06D34FA6
	ds_write_b32 v182, v180                                    // 00000000AF24: D81A0000 0000B4B6
	s_waitcnt lgkmcnt(0)                                       // 00000000AF2C: BF8CC07F
	s_barrier                                                  // 00000000AF30: BF8A0000
	ds_read_b32 v4, v183                                       // 00000000AF34: D86C0000 040000B7
	ds_read_b32 v5, v183 offset:64                             // 00000000AF3C: D86C0040 050000B7
	ds_read_b32 v6, v183 offset:128                            // 00000000AF44: D86C0080 060000B7
	ds_read_b32 v7, v183 offset:192                            // 00000000AF4C: D86C00C0 070000B7
	ds_read_b32 v8, v183 offset:256                            // 00000000AF54: D86C0100 080000B7
	ds_read_b32 v9, v183 offset:320                            // 00000000AF5C: D86C0140 090000B7
	ds_read_b32 v10, v183 offset:384                           // 00000000AF64: D86C0180 0A0000B7
	ds_read_b32 v11, v183 offset:448                           // 00000000AF6C: D86C01C0 0B0000B7
	ds_read_b32 v12, v183 offset:512                           // 00000000AF74: D86C0200 0C0000B7
	ds_read_b32 v13, v183 offset:576                           // 00000000AF7C: D86C0240 0D0000B7
	ds_read_b32 v14, v183 offset:640                           // 00000000AF84: D86C0280 0E0000B7
	ds_read_b32 v15, v183 offset:704                           // 00000000AF8C: D86C02C0 0F0000B7
	ds_read_b32 v16, v183 offset:768                           // 00000000AF94: D86C0300 100000B7
	ds_read_b32 v17, v183 offset:832                           // 00000000AF9C: D86C0340 110000B7
	ds_read_b32 v18, v183 offset:896                           // 00000000AFA4: D86C0380 120000B7
	ds_read_b32 v19, v183 offset:960                           // 00000000AFAC: D86C03C0 130000B7
	s_waitcnt lgkmcnt(0)                                       // 00000000AFB4: BF8CC07F
	s_barrier                                                  // 00000000AFB8: BF8A0000
	v_max3_f32 v180, |v4|, |v5|, v180                          // 00000000AFBC: D1D303B4 06D20B04
	v_max3_f32 v180, |v6|, |v7|, v180                          // 00000000AFC4: D1D303B4 06D20F06
	v_max3_f32 v180, |v8|, |v9|, v180                          // 00000000AFCC: D1D303B4 06D21308
	v_max3_f32 v180, |v10|, |v11|, v180                        // 00000000AFD4: D1D303B4 06D2170A
	v_max3_f32 v180, |v12|, |v13|, v180                        // 00000000AFDC: D1D303B4 06D21B0C
	v_max3_f32 v180, |v14|, |v15|, v180                        // 00000000AFE4: D1D303B4 06D21F0E
	v_max3_f32 v180, |v16|, |v17|, v180                        // 00000000AFEC: D1D303B4 06D22310
	v_max3_f32 v180, |v18|, |v19|, v180                        // 00000000AFF4: D1D303B4 06D22712
	v_rcp_f32_e32 v180, v180                                   // 00000000AFFC: 7F6845B4
	v_mov_b32_e32 v4, 0x43700000                               // 00000000B000: 7E0802FF 43700000
	v_mul_f32_e32 v180, v4, v180                               // 00000000B008: 0B696904
	v_mov_b32_e32 v4, v180                                     // 00000000B00C: 7E0803B4
	v_mov_b32_e32 v5, v4                                       // 00000000B010: 7E0A0304
	v_pk_mul_f32 v[124:125], v[4:5], v[124:125]                // 00000000B014: D3B1407C 1802F904
	v_pk_mul_f32 v[126:127], v[4:5], v[126:127]                // 00000000B01C: D3B1407E 1802FD04
	v_cvt_pk_fp8_f32 v124, v124, v125                          // 00000000B024: D2A2007C 0002FB7C
	v_cvt_pk_fp8_f32 v124, v126, v127 op_sel:[0,0,1]           // 00000000B02C: D2A2407C 0002FF7E
	v_pk_mul_f32 v[164:165], v[4:5], v[164:165]                // 00000000B034: D3B140A4 18034904
	v_pk_mul_f32 v[166:167], v[4:5], v[166:167]                // 00000000B03C: D3B140A6 18034D04
	v_cvt_pk_fp8_f32 v164, v164, v165                          // 00000000B044: D2A200A4 00034BA4
	v_cvt_pk_fp8_f32 v164, v166, v167 op_sel:[0,0,1]           // 00000000B04C: D2A240A4 00034FA6
	v_rcp_f32_e32 v180, v180                                   // 00000000B054: 7F6845B4
	v_mov_b32_e32 v181, 0x358637bd                             // 00000000B058: 7F6A02FF 358637BD
	v_max3_f32 v181, |v128|, |v129|, v181                      // 00000000B060: D1D303B5 06D70380
	v_max3_f32 v181, |v130|, |v131|, v181                      // 00000000B068: D1D303B5 06D70782
	v_max3_f32 v181, |v168|, |v169|, v181                      // 00000000B070: D1D303B5 06D753A8
	v_max3_f32 v181, |v170|, |v171|, v181                      // 00000000B078: D1D303B5 06D757AA
	ds_write_b32 v182, v181                                    // 00000000B080: D81A0000 0000B5B6
	s_waitcnt lgkmcnt(0)                                       // 00000000B088: BF8CC07F
	s_barrier                                                  // 00000000B08C: BF8A0000
	ds_read_b32 v4, v183                                       // 00000000B090: D86C0000 040000B7
	ds_read_b32 v5, v183 offset:64                             // 00000000B098: D86C0040 050000B7
	ds_read_b32 v6, v183 offset:128                            // 00000000B0A0: D86C0080 060000B7
	ds_read_b32 v7, v183 offset:192                            // 00000000B0A8: D86C00C0 070000B7
	ds_read_b32 v8, v183 offset:256                            // 00000000B0B0: D86C0100 080000B7
	ds_read_b32 v9, v183 offset:320                            // 00000000B0B8: D86C0140 090000B7
	ds_read_b32 v10, v183 offset:384                           // 00000000B0C0: D86C0180 0A0000B7
	ds_read_b32 v11, v183 offset:448                           // 00000000B0C8: D86C01C0 0B0000B7
	ds_read_b32 v12, v183 offset:512                           // 00000000B0D0: D86C0200 0C0000B7
	ds_read_b32 v13, v183 offset:576                           // 00000000B0D8: D86C0240 0D0000B7
	ds_read_b32 v14, v183 offset:640                           // 00000000B0E0: D86C0280 0E0000B7
	ds_read_b32 v15, v183 offset:704                           // 00000000B0E8: D86C02C0 0F0000B7
	ds_read_b32 v16, v183 offset:768                           // 00000000B0F0: D86C0300 100000B7
	ds_read_b32 v17, v183 offset:832                           // 00000000B0F8: D86C0340 110000B7
	ds_read_b32 v18, v183 offset:896                           // 00000000B100: D86C0380 120000B7
	ds_read_b32 v19, v183 offset:960                           // 00000000B108: D86C03C0 130000B7
	s_waitcnt lgkmcnt(0)                                       // 00000000B110: BF8CC07F
	s_barrier                                                  // 00000000B114: BF8A0000
	v_max3_f32 v181, |v4|, |v5|, v181                          // 00000000B118: D1D303B5 06D60B04
	v_max3_f32 v181, |v6|, |v7|, v181                          // 00000000B120: D1D303B5 06D60F06
	v_max3_f32 v181, |v8|, |v9|, v181                          // 00000000B128: D1D303B5 06D61308
	v_max3_f32 v181, |v10|, |v11|, v181                        // 00000000B130: D1D303B5 06D6170A
	v_max3_f32 v181, |v12|, |v13|, v181                        // 00000000B138: D1D303B5 06D61B0C
	v_max3_f32 v181, |v14|, |v15|, v181                        // 00000000B140: D1D303B5 06D61F0E
	v_max3_f32 v181, |v16|, |v17|, v181                        // 00000000B148: D1D303B5 06D62310
	v_max3_f32 v181, |v18|, |v19|, v181                        // 00000000B150: D1D303B5 06D62712
	v_rcp_f32_e32 v181, v181                                   // 00000000B158: 7F6A45B5
	v_mov_b32_e32 v4, 0x43700000                               // 00000000B15C: 7E0802FF 43700000
	v_mul_f32_e32 v181, v4, v181                               // 00000000B164: 0B6B6B04
	v_mov_b32_e32 v4, v181                                     // 00000000B168: 7E0803B5
	v_mov_b32_e32 v5, v4                                       // 00000000B16C: 7E0A0304
	v_pk_mul_f32 v[128:129], v[4:5], v[128:129]                // 00000000B170: D3B14080 18030104
	v_pk_mul_f32 v[130:131], v[4:5], v[130:131]                // 00000000B178: D3B14082 18030504
	v_cvt_pk_fp8_f32 v128, v128, v129                          // 00000000B180: D2A20080 00030380
	v_cvt_pk_fp8_f32 v128, v130, v131 op_sel:[0,0,1]           // 00000000B188: D2A24080 00030782
	v_pk_mul_f32 v[168:169], v[4:5], v[168:169]                // 00000000B190: D3B140A8 18035104
	v_pk_mul_f32 v[170:171], v[4:5], v[170:171]                // 00000000B198: D3B140AA 18035504
	v_cvt_pk_fp8_f32 v168, v168, v169                          // 00000000B1A0: D2A200A8 000353A8
	v_cvt_pk_fp8_f32 v168, v170, v171 op_sel:[0,0,1]           // 00000000B1A8: D2A240A8 000357AA
	v_rcp_f32_e32 v181, v181                                   // 00000000B1B0: 7F6A45B5
	v_lshrrev_b32_e32 v4, 5, v0                                // 00000000B1B4: 20080085
	v_mul_lo_u32 v20, 34, v4                                   // 00000000B1B8: D2850014 000208A2
	v_and_b32_e32 v4, 31, v0                                   // 00000000B1C0: 2608009F
	v_lshrrev_b32_e32 v5, 4, v4                                // 00000000B1C4: 200A0884
	v_add_u32_e32 v20, v5, v20                                 // 00000000B1C8: 68282905
	v_and_b32_e32 v4, 15, v0                                   // 00000000B1CC: 2608008F
	v_mul_lo_u32 v5, 2, v4                                     // 00000000B1D0: D2850005 00020882
	v_add_u32_e32 v20, v5, v20                                 // 00000000B1D8: 68282905
	s_mul_i32 s60, s7, 0x44                                    // 00000000B1DC: 923CFF07 00000044
	v_add_u32_e32 v20, s60, v20                                // 00000000B1E4: 6828283C
	v_lshlrev_b32_e32 v20, 2, v20                              // 00000000B1E8: 24282882
	ds_write_b32 v20, v92                                      // 00000000B1EC: D81A0000 00005C14
	ds_write_b32 v20, v96 offset:2176                          // 00000000B1F4: D81A0880 00006014
	ds_write_b32 v20, v100 offset:4352                         // 00000000B1FC: D81A1100 00006414
	ds_write_b32 v20, v104 offset:6528                         // 00000000B204: D81A1980 00006814
	ds_write_b32 v20, v108 offset:8704                         // 00000000B20C: D81A2200 00006C14
	ds_write_b32 v20, v112 offset:10880                        // 00000000B214: D81A2A80 00007014
	ds_write_b32 v20, v116 offset:13056                        // 00000000B21C: D81A3300 00007414
	ds_write_b32 v20, v120 offset:15232                        // 00000000B224: D81A3B80 00007814
	ds_write_b32 v20, v124 offset:17408                        // 00000000B22C: D81A4400 00007C14
	ds_write_b32 v20, v128 offset:19584                        // 00000000B234: D81A4C80 00008014
	ds_write_b32 v20, v132 offset:1088                         // 00000000B23C: D81A0440 00008414
	ds_write_b32 v20, v136 offset:3264                         // 00000000B244: D81A0CC0 00008814
	ds_write_b32 v20, v140 offset:5440                         // 00000000B24C: D81A1540 00008C14
	ds_write_b32 v20, v144 offset:7616                         // 00000000B254: D81A1DC0 00009014
	ds_write_b32 v20, v148 offset:9792                         // 00000000B25C: D81A2640 00009414
	ds_write_b32 v20, v152 offset:11968                        // 00000000B264: D81A2EC0 00009814
	ds_write_b32 v20, v156 offset:14144                        // 00000000B26C: D81A3740 00009C14
	ds_write_b32 v20, v160 offset:16320                        // 00000000B274: D81A3FC0 0000A014
	ds_write_b32 v20, v164 offset:18496                        // 00000000B27C: D81A4840 0000A414
	ds_write_b32 v20, v168 offset:20672                        // 00000000B284: D81A50C0 0000A814
	v_lshrrev_b32_e32 v4, 5, v0                                // 00000000B28C: 20080085
	v_xor_b32_e32 v5, 1, v4                                    // 00000000B290: 2A0A0881
	s_mul_i32 s60, s65, 1                                      // 00000000B294: 923C8141
	s_cmp_eq_u32 s88, 0                                        // 00000000B298: BF068058
	s_cselect_b32 s61, 1, 8                                    // 00000000B29C: 853D8881
	s_mul_i32 s60, s61, s60                                    // 00000000B2A0: 923C3C3D
	v_readlane_b32 s82, v3, 0                                  // 00000000B2A4: D2890052 00010103
	s_lshr_b32 s61, s82, 24                                    // 00000000B2AC: 8F3D9852
	s_and_b32 s82, s82, 0xffffff                               // 00000000B2B0: 8652FF52 00FFFFFF
	s_mul_i32 s82, s82, s71                                    // 00000000B2B8: 92524752
	s_mul_i32 s61, s60, s61                                    // 00000000B2BC: 923D3D3C
	s_add_u32 s82, s82, s61                                    // 00000000B2C0: 80523D52
	v_mul_lo_u32 v6, v5, s82                                   // 00000000B2C4: D2850006 0000A505
	v_readlane_b32 s82, v3, 1                                  // 00000000B2CC: D2890052 00010303
	s_lshr_b32 s61, s82, 24                                    // 00000000B2D4: 8F3D9852
	s_and_b32 s82, s82, 0xffffff                               // 00000000B2D8: 8652FF52 00FFFFFF
	s_mul_i32 s82, s82, s71                                    // 00000000B2E0: 92524752
	s_mul_i32 s61, s60, s61                                    // 00000000B2E4: 923D3D3C
	s_add_u32 s82, s82, s61                                    // 00000000B2E8: 80523D52
	v_mul_lo_u32 v7, v4, s82                                   // 00000000B2EC: D2850007 0000A504
	v_add_u32_e32 v70, v6, v7                                  // 00000000B2F4: 688C0F06
	v_readlane_b32 s82, v3, 2                                  // 00000000B2F8: D2890052 00010503
	s_lshr_b32 s61, s82, 24                                    // 00000000B300: 8F3D9852
	s_and_b32 s82, s82, 0xffffff                               // 00000000B304: 8652FF52 00FFFFFF
	s_mul_i32 s82, s82, s71                                    // 00000000B30C: 92524752
	s_mul_i32 s61, s60, s61                                    // 00000000B310: 923D3D3C
	s_add_u32 s82, s82, s61                                    // 00000000B314: 80523D52
	v_mul_lo_u32 v6, v5, s82                                   // 00000000B318: D2850006 0000A505
	v_readlane_b32 s82, v3, 3                                  // 00000000B320: D2890052 00010703
	s_lshr_b32 s61, s82, 24                                    // 00000000B328: 8F3D9852
	s_and_b32 s82, s82, 0xffffff                               // 00000000B32C: 8652FF52 00FFFFFF
	s_mul_i32 s82, s82, s71                                    // 00000000B334: 92524752
	s_mul_i32 s61, s60, s61                                    // 00000000B338: 923D3D3C
	s_add_u32 s82, s82, s61                                    // 00000000B33C: 80523D52
	v_mul_lo_u32 v7, v4, s82                                   // 00000000B340: D2850007 0000A504
	v_add_u32_e32 v71, v6, v7                                  // 00000000B348: 688E0F06
	v_readlane_b32 s82, v3, 4                                  // 00000000B34C: D2890052 00010903
	s_lshr_b32 s61, s82, 24                                    // 00000000B354: 8F3D9852
	s_and_b32 s82, s82, 0xffffff                               // 00000000B358: 8652FF52 00FFFFFF
	s_mul_i32 s82, s82, s71                                    // 00000000B360: 92524752
	s_mul_i32 s61, s60, s61                                    // 00000000B364: 923D3D3C
	s_add_u32 s82, s82, s61                                    // 00000000B368: 80523D52
	v_mul_lo_u32 v6, v5, s82                                   // 00000000B36C: D2850006 0000A505
	v_readlane_b32 s82, v3, 5                                  // 00000000B374: D2890052 00010B03
	s_lshr_b32 s61, s82, 24                                    // 00000000B37C: 8F3D9852
	s_and_b32 s82, s82, 0xffffff                               // 00000000B380: 8652FF52 00FFFFFF
	s_mul_i32 s82, s82, s71                                    // 00000000B388: 92524752
	s_mul_i32 s61, s60, s61                                    // 00000000B38C: 923D3D3C
	s_add_u32 s82, s82, s61                                    // 00000000B390: 80523D52
	v_mul_lo_u32 v7, v4, s82                                   // 00000000B394: D2850007 0000A504
	v_add_u32_e32 v72, v6, v7                                  // 00000000B39C: 68900F06
	v_readlane_b32 s82, v3, 6                                  // 00000000B3A0: D2890052 00010D03
	s_lshr_b32 s61, s82, 24                                    // 00000000B3A8: 8F3D9852
	s_and_b32 s82, s82, 0xffffff                               // 00000000B3AC: 8652FF52 00FFFFFF
	s_mul_i32 s82, s82, s71                                    // 00000000B3B4: 92524752
	s_mul_i32 s61, s60, s61                                    // 00000000B3B8: 923D3D3C
	s_add_u32 s82, s82, s61                                    // 00000000B3BC: 80523D52
	v_mul_lo_u32 v6, v5, s82                                   // 00000000B3C0: D2850006 0000A505
	v_readlane_b32 s82, v3, 7                                  // 00000000B3C8: D2890052 00010F03
	s_lshr_b32 s61, s82, 24                                    // 00000000B3D0: 8F3D9852
	s_and_b32 s82, s82, 0xffffff                               // 00000000B3D4: 8652FF52 00FFFFFF
	s_mul_i32 s82, s82, s71                                    // 00000000B3DC: 92524752
	s_mul_i32 s61, s60, s61                                    // 00000000B3E0: 923D3D3C
	s_add_u32 s82, s82, s61                                    // 00000000B3E4: 80523D52
	v_mul_lo_u32 v7, v4, s82                                   // 00000000B3E8: D2850007 0000A504
	v_add_u32_e32 v73, v6, v7                                  // 00000000B3F0: 68920F06
	v_readlane_b32 s82, v3, 8                                  // 00000000B3F4: D2890052 00011103
	s_lshr_b32 s61, s82, 24                                    // 00000000B3FC: 8F3D9852
	s_and_b32 s82, s82, 0xffffff                               // 00000000B400: 8652FF52 00FFFFFF
	s_mul_i32 s82, s82, s71                                    // 00000000B408: 92524752
	s_mul_i32 s61, s60, s61                                    // 00000000B40C: 923D3D3C
	s_add_u32 s82, s82, s61                                    // 00000000B410: 80523D52
	v_mul_lo_u32 v6, v5, s82                                   // 00000000B414: D2850006 0000A505
	v_readlane_b32 s82, v3, 9                                  // 00000000B41C: D2890052 00011303
	s_lshr_b32 s61, s82, 24                                    // 00000000B424: 8F3D9852
	s_and_b32 s82, s82, 0xffffff                               // 00000000B428: 8652FF52 00FFFFFF
	s_mul_i32 s82, s82, s71                                    // 00000000B430: 92524752
	s_mul_i32 s61, s60, s61                                    // 00000000B434: 923D3D3C
	s_add_u32 s82, s82, s61                                    // 00000000B438: 80523D52
	v_mul_lo_u32 v7, v4, s82                                   // 00000000B43C: D2850007 0000A504
	v_add_u32_e32 v74, v6, v7                                  // 00000000B444: 68940F06
	v_readlane_b32 s82, v3, 10                                 // 00000000B448: D2890052 00011503
	s_lshr_b32 s61, s82, 24                                    // 00000000B450: 8F3D9852
	s_and_b32 s82, s82, 0xffffff                               // 00000000B454: 8652FF52 00FFFFFF
	s_mul_i32 s82, s82, s71                                    // 00000000B45C: 92524752
	s_mul_i32 s61, s60, s61                                    // 00000000B460: 923D3D3C
	s_add_u32 s82, s82, s61                                    // 00000000B464: 80523D52
	v_mul_lo_u32 v6, v5, s82                                   // 00000000B468: D2850006 0000A505
	v_readlane_b32 s82, v3, 11                                 // 00000000B470: D2890052 00011703
	s_lshr_b32 s61, s82, 24                                    // 00000000B478: 8F3D9852
	s_and_b32 s82, s82, 0xffffff                               // 00000000B47C: 8652FF52 00FFFFFF
	s_mul_i32 s82, s82, s71                                    // 00000000B484: 92524752
	s_mul_i32 s61, s60, s61                                    // 00000000B488: 923D3D3C
	s_add_u32 s82, s82, s61                                    // 00000000B48C: 80523D52
	v_mul_lo_u32 v7, v4, s82                                   // 00000000B490: D2850007 0000A504
	v_add_u32_e32 v75, v6, v7                                  // 00000000B498: 68960F06
	v_readlane_b32 s82, v3, 12                                 // 00000000B49C: D2890052 00011903
	s_lshr_b32 s61, s82, 24                                    // 00000000B4A4: 8F3D9852
	s_and_b32 s82, s82, 0xffffff                               // 00000000B4A8: 8652FF52 00FFFFFF
	s_mul_i32 s82, s82, s71                                    // 00000000B4B0: 92524752
	s_mul_i32 s61, s60, s61                                    // 00000000B4B4: 923D3D3C
	s_add_u32 s82, s82, s61                                    // 00000000B4B8: 80523D52
	v_mul_lo_u32 v6, v5, s82                                   // 00000000B4BC: D2850006 0000A505
	v_readlane_b32 s82, v3, 13                                 // 00000000B4C4: D2890052 00011B03
	s_lshr_b32 s61, s82, 24                                    // 00000000B4CC: 8F3D9852
	s_and_b32 s82, s82, 0xffffff                               // 00000000B4D0: 8652FF52 00FFFFFF
	s_mul_i32 s82, s82, s71                                    // 00000000B4D8: 92524752
	s_mul_i32 s61, s60, s61                                    // 00000000B4DC: 923D3D3C
	s_add_u32 s82, s82, s61                                    // 00000000B4E0: 80523D52
	v_mul_lo_u32 v7, v4, s82                                   // 00000000B4E4: D2850007 0000A504
	v_add_u32_e32 v76, v6, v7                                  // 00000000B4EC: 68980F06
	v_readlane_b32 s82, v3, 14                                 // 00000000B4F0: D2890052 00011D03
	s_lshr_b32 s61, s82, 24                                    // 00000000B4F8: 8F3D9852
	s_and_b32 s82, s82, 0xffffff                               // 00000000B4FC: 8652FF52 00FFFFFF
	s_mul_i32 s82, s82, s71                                    // 00000000B504: 92524752
	s_mul_i32 s61, s60, s61                                    // 00000000B508: 923D3D3C
	s_add_u32 s82, s82, s61                                    // 00000000B50C: 80523D52
	v_mul_lo_u32 v6, v5, s82                                   // 00000000B510: D2850006 0000A505
	v_readlane_b32 s82, v3, 15                                 // 00000000B518: D2890052 00011F03
	s_lshr_b32 s61, s82, 24                                    // 00000000B520: 8F3D9852
	s_and_b32 s82, s82, 0xffffff                               // 00000000B524: 8652FF52 00FFFFFF
	s_mul_i32 s82, s82, s71                                    // 00000000B52C: 92524752
	s_mul_i32 s61, s60, s61                                    // 00000000B530: 923D3D3C
	s_add_u32 s82, s82, s61                                    // 00000000B534: 80523D52
	v_mul_lo_u32 v7, v4, s82                                   // 00000000B538: D2850007 0000A504
	v_add_u32_e32 v77, v6, v7                                  // 00000000B540: 689A0F06
	v_readlane_b32 s82, v3, 16                                 // 00000000B544: D2890052 00012103
	s_lshr_b32 s61, s82, 24                                    // 00000000B54C: 8F3D9852
	s_and_b32 s82, s82, 0xffffff                               // 00000000B550: 8652FF52 00FFFFFF
	s_mul_i32 s82, s82, s71                                    // 00000000B558: 92524752
	s_mul_i32 s61, s60, s61                                    // 00000000B55C: 923D3D3C
	s_add_u32 s82, s82, s61                                    // 00000000B560: 80523D52
	v_mul_lo_u32 v6, v5, s82                                   // 00000000B564: D2850006 0000A505
	v_readlane_b32 s82, v3, 17                                 // 00000000B56C: D2890052 00012303
	s_lshr_b32 s61, s82, 24                                    // 00000000B574: 8F3D9852
	s_and_b32 s82, s82, 0xffffff                               // 00000000B578: 8652FF52 00FFFFFF
	s_mul_i32 s82, s82, s71                                    // 00000000B580: 92524752
	s_mul_i32 s61, s60, s61                                    // 00000000B584: 923D3D3C
	s_add_u32 s82, s82, s61                                    // 00000000B588: 80523D52
	v_mul_lo_u32 v7, v4, s82                                   // 00000000B58C: D2850007 0000A504
	v_add_u32_e32 v78, v6, v7                                  // 00000000B594: 689C0F06
	v_readlane_b32 s82, v3, 18                                 // 00000000B598: D2890052 00012503
	s_lshr_b32 s61, s82, 24                                    // 00000000B5A0: 8F3D9852
	s_and_b32 s82, s82, 0xffffff                               // 00000000B5A4: 8652FF52 00FFFFFF
	s_mul_i32 s82, s82, s71                                    // 00000000B5AC: 92524752
	s_mul_i32 s61, s60, s61                                    // 00000000B5B0: 923D3D3C
	s_add_u32 s82, s82, s61                                    // 00000000B5B4: 80523D52
	v_mul_lo_u32 v6, v5, s82                                   // 00000000B5B8: D2850006 0000A505
	v_readlane_b32 s82, v3, 19                                 // 00000000B5C0: D2890052 00012703
	s_lshr_b32 s61, s82, 24                                    // 00000000B5C8: 8F3D9852
	s_and_b32 s82, s82, 0xffffff                               // 00000000B5CC: 8652FF52 00FFFFFF
	s_mul_i32 s82, s82, s71                                    // 00000000B5D4: 92524752
	s_mul_i32 s61, s60, s61                                    // 00000000B5D8: 923D3D3C
	s_add_u32 s82, s82, s61                                    // 00000000B5DC: 80523D52
	v_mul_lo_u32 v7, v4, s82                                   // 00000000B5E0: D2850007 0000A504
	v_add_u32_e32 v79, v6, v7                                  // 00000000B5E8: 689E0F06
	v_readlane_b32 s82, v3, 20                                 // 00000000B5EC: D2890052 00012903
	s_lshr_b32 s61, s82, 24                                    // 00000000B5F4: 8F3D9852
	s_and_b32 s82, s82, 0xffffff                               // 00000000B5F8: 8652FF52 00FFFFFF
	s_mul_i32 s82, s82, s71                                    // 00000000B600: 92524752
	s_mul_i32 s61, s60, s61                                    // 00000000B604: 923D3D3C
	s_add_u32 s82, s82, s61                                    // 00000000B608: 80523D52
	v_mul_lo_u32 v6, v5, s82                                   // 00000000B60C: D2850006 0000A505
	v_readlane_b32 s82, v3, 21                                 // 00000000B614: D2890052 00012B03
	s_lshr_b32 s61, s82, 24                                    // 00000000B61C: 8F3D9852
	s_and_b32 s82, s82, 0xffffff                               // 00000000B620: 8652FF52 00FFFFFF
	s_mul_i32 s82, s82, s71                                    // 00000000B628: 92524752
	s_mul_i32 s61, s60, s61                                    // 00000000B62C: 923D3D3C
	s_add_u32 s82, s82, s61                                    // 00000000B630: 80523D52
	v_mul_lo_u32 v7, v4, s82                                   // 00000000B634: D2850007 0000A504
	v_add_u32_e32 v80, v6, v7                                  // 00000000B63C: 68A00F06
	v_readlane_b32 s82, v3, 22                                 // 00000000B640: D2890052 00012D03
	s_lshr_b32 s61, s82, 24                                    // 00000000B648: 8F3D9852
	s_and_b32 s82, s82, 0xffffff                               // 00000000B64C: 8652FF52 00FFFFFF
	s_mul_i32 s82, s82, s71                                    // 00000000B654: 92524752
	s_mul_i32 s61, s60, s61                                    // 00000000B658: 923D3D3C
	s_add_u32 s82, s82, s61                                    // 00000000B65C: 80523D52
	v_mul_lo_u32 v6, v5, s82                                   // 00000000B660: D2850006 0000A505
	v_readlane_b32 s82, v3, 23                                 // 00000000B668: D2890052 00012F03
	s_lshr_b32 s61, s82, 24                                    // 00000000B670: 8F3D9852
	s_and_b32 s82, s82, 0xffffff                               // 00000000B674: 8652FF52 00FFFFFF
	s_mul_i32 s82, s82, s71                                    // 00000000B67C: 92524752
	s_mul_i32 s61, s60, s61                                    // 00000000B680: 923D3D3C
	s_add_u32 s82, s82, s61                                    // 00000000B684: 80523D52
	v_mul_lo_u32 v7, v4, s82                                   // 00000000B688: D2850007 0000A504
	v_add_u32_e32 v81, v6, v7                                  // 00000000B690: 68A20F06
	v_readlane_b32 s82, v3, 24                                 // 00000000B694: D2890052 00013103
	s_lshr_b32 s61, s82, 24                                    // 00000000B69C: 8F3D9852
	s_and_b32 s82, s82, 0xffffff                               // 00000000B6A0: 8652FF52 00FFFFFF
	s_mul_i32 s82, s82, s71                                    // 00000000B6A8: 92524752
	s_mul_i32 s61, s60, s61                                    // 00000000B6AC: 923D3D3C
	s_add_u32 s82, s82, s61                                    // 00000000B6B0: 80523D52
	v_mul_lo_u32 v6, v5, s82                                   // 00000000B6B4: D2850006 0000A505
	v_readlane_b32 s82, v3, 25                                 // 00000000B6BC: D2890052 00013303
	s_lshr_b32 s61, s82, 24                                    // 00000000B6C4: 8F3D9852
	s_and_b32 s82, s82, 0xffffff                               // 00000000B6C8: 8652FF52 00FFFFFF
	s_mul_i32 s82, s82, s71                                    // 00000000B6D0: 92524752
	s_mul_i32 s61, s60, s61                                    // 00000000B6D4: 923D3D3C
	s_add_u32 s82, s82, s61                                    // 00000000B6D8: 80523D52
	v_mul_lo_u32 v7, v4, s82                                   // 00000000B6DC: D2850007 0000A504
	v_add_u32_e32 v82, v6, v7                                  // 00000000B6E4: 68A40F06
	v_readlane_b32 s82, v3, 26                                 // 00000000B6E8: D2890052 00013503
	s_lshr_b32 s61, s82, 24                                    // 00000000B6F0: 8F3D9852
	s_and_b32 s82, s82, 0xffffff                               // 00000000B6F4: 8652FF52 00FFFFFF
	s_mul_i32 s82, s82, s71                                    // 00000000B6FC: 92524752
	s_mul_i32 s61, s60, s61                                    // 00000000B700: 923D3D3C
	s_add_u32 s82, s82, s61                                    // 00000000B704: 80523D52
	v_mul_lo_u32 v6, v5, s82                                   // 00000000B708: D2850006 0000A505
	v_readlane_b32 s82, v3, 27                                 // 00000000B710: D2890052 00013703
	s_lshr_b32 s61, s82, 24                                    // 00000000B718: 8F3D9852
	s_and_b32 s82, s82, 0xffffff                               // 00000000B71C: 8652FF52 00FFFFFF
	s_mul_i32 s82, s82, s71                                    // 00000000B724: 92524752
	s_mul_i32 s61, s60, s61                                    // 00000000B728: 923D3D3C
	s_add_u32 s82, s82, s61                                    // 00000000B72C: 80523D52
	v_mul_lo_u32 v7, v4, s82                                   // 00000000B730: D2850007 0000A504
	v_add_u32_e32 v83, v6, v7                                  // 00000000B738: 68A60F06
	v_readlane_b32 s82, v3, 28                                 // 00000000B73C: D2890052 00013903
	s_lshr_b32 s61, s82, 24                                    // 00000000B744: 8F3D9852
	s_and_b32 s82, s82, 0xffffff                               // 00000000B748: 8652FF52 00FFFFFF
	s_mul_i32 s82, s82, s71                                    // 00000000B750: 92524752
	s_mul_i32 s61, s60, s61                                    // 00000000B754: 923D3D3C
	s_add_u32 s82, s82, s61                                    // 00000000B758: 80523D52
	v_mul_lo_u32 v6, v5, s82                                   // 00000000B75C: D2850006 0000A505
	v_readlane_b32 s82, v3, 29                                 // 00000000B764: D2890052 00013B03
	s_lshr_b32 s61, s82, 24                                    // 00000000B76C: 8F3D9852
	s_and_b32 s82, s82, 0xffffff                               // 00000000B770: 8652FF52 00FFFFFF
	s_mul_i32 s82, s82, s71                                    // 00000000B778: 92524752
	s_mul_i32 s61, s60, s61                                    // 00000000B77C: 923D3D3C
	s_add_u32 s82, s82, s61                                    // 00000000B780: 80523D52
	v_mul_lo_u32 v7, v4, s82                                   // 00000000B784: D2850007 0000A504
	v_add_u32_e32 v84, v6, v7                                  // 00000000B78C: 68A80F06
	v_readlane_b32 s82, v3, 30                                 // 00000000B790: D2890052 00013D03
	s_lshr_b32 s61, s82, 24                                    // 00000000B798: 8F3D9852
	s_and_b32 s82, s82, 0xffffff                               // 00000000B79C: 8652FF52 00FFFFFF
	s_mul_i32 s82, s82, s71                                    // 00000000B7A4: 92524752
	s_mul_i32 s61, s60, s61                                    // 00000000B7A8: 923D3D3C
	s_add_u32 s82, s82, s61                                    // 00000000B7AC: 80523D52
	v_mul_lo_u32 v6, v5, s82                                   // 00000000B7B0: D2850006 0000A505
	v_readlane_b32 s82, v3, 31                                 // 00000000B7B8: D2890052 00013F03
	s_lshr_b32 s61, s82, 24                                    // 00000000B7C0: 8F3D9852
	s_and_b32 s82, s82, 0xffffff                               // 00000000B7C4: 8652FF52 00FFFFFF
	s_mul_i32 s82, s82, s71                                    // 00000000B7CC: 92524752
	s_mul_i32 s61, s60, s61                                    // 00000000B7D0: 923D3D3C
	s_add_u32 s82, s82, s61                                    // 00000000B7D4: 80523D52
	v_mul_lo_u32 v7, v4, s82                                   // 00000000B7D8: D2850007 0000A504
	v_add_u32_e32 v85, v6, v7                                  // 00000000B7E0: 68AA0F06
	v_readlane_b32 s82, v3, 32                                 // 00000000B7E4: D2890052 00014103
	s_lshr_b32 s61, s82, 24                                    // 00000000B7EC: 8F3D9852
	s_and_b32 s82, s82, 0xffffff                               // 00000000B7F0: 8652FF52 00FFFFFF
	s_mul_i32 s82, s82, s71                                    // 00000000B7F8: 92524752
	s_mul_i32 s61, s60, s61                                    // 00000000B7FC: 923D3D3C
	s_add_u32 s82, s82, s61                                    // 00000000B800: 80523D52
	v_mul_lo_u32 v6, v5, s82                                   // 00000000B804: D2850006 0000A505
	v_readlane_b32 s82, v3, 33                                 // 00000000B80C: D2890052 00014303
	s_lshr_b32 s61, s82, 24                                    // 00000000B814: 8F3D9852
	s_and_b32 s82, s82, 0xffffff                               // 00000000B818: 8652FF52 00FFFFFF
	s_mul_i32 s82, s82, s71                                    // 00000000B820: 92524752
	s_mul_i32 s61, s60, s61                                    // 00000000B824: 923D3D3C
	s_add_u32 s82, s82, s61                                    // 00000000B828: 80523D52
	v_mul_lo_u32 v7, v4, s82                                   // 00000000B82C: D2850007 0000A504
	v_add_u32_e32 v86, v6, v7                                  // 00000000B834: 68AC0F06
	v_readlane_b32 s82, v3, 34                                 // 00000000B838: D2890052 00014503
	s_lshr_b32 s61, s82, 24                                    // 00000000B840: 8F3D9852
	s_and_b32 s82, s82, 0xffffff                               // 00000000B844: 8652FF52 00FFFFFF
	s_mul_i32 s82, s82, s71                                    // 00000000B84C: 92524752
	s_mul_i32 s61, s60, s61                                    // 00000000B850: 923D3D3C
	s_add_u32 s82, s82, s61                                    // 00000000B854: 80523D52
	v_mul_lo_u32 v6, v5, s82                                   // 00000000B858: D2850006 0000A505
	v_readlane_b32 s82, v3, 35                                 // 00000000B860: D2890052 00014703
	s_lshr_b32 s61, s82, 24                                    // 00000000B868: 8F3D9852
	s_and_b32 s82, s82, 0xffffff                               // 00000000B86C: 8652FF52 00FFFFFF
	s_mul_i32 s82, s82, s71                                    // 00000000B874: 92524752
	s_mul_i32 s61, s60, s61                                    // 00000000B878: 923D3D3C
	s_add_u32 s82, s82, s61                                    // 00000000B87C: 80523D52
	v_mul_lo_u32 v7, v4, s82                                   // 00000000B880: D2850007 0000A504
	v_add_u32_e32 v87, v6, v7                                  // 00000000B888: 68AE0F06
	v_readlane_b32 s82, v3, 36                                 // 00000000B88C: D2890052 00014903
	s_lshr_b32 s61, s82, 24                                    // 00000000B894: 8F3D9852
	s_and_b32 s82, s82, 0xffffff                               // 00000000B898: 8652FF52 00FFFFFF
	s_mul_i32 s82, s82, s71                                    // 00000000B8A0: 92524752
	s_mul_i32 s61, s60, s61                                    // 00000000B8A4: 923D3D3C
	s_add_u32 s82, s82, s61                                    // 00000000B8A8: 80523D52
	v_mul_lo_u32 v6, v5, s82                                   // 00000000B8AC: D2850006 0000A505
	v_readlane_b32 s82, v3, 37                                 // 00000000B8B4: D2890052 00014B03
	s_lshr_b32 s61, s82, 24                                    // 00000000B8BC: 8F3D9852
	s_and_b32 s82, s82, 0xffffff                               // 00000000B8C0: 8652FF52 00FFFFFF
	s_mul_i32 s82, s82, s71                                    // 00000000B8C8: 92524752
	s_mul_i32 s61, s60, s61                                    // 00000000B8CC: 923D3D3C
	s_add_u32 s82, s82, s61                                    // 00000000B8D0: 80523D52
	v_mul_lo_u32 v7, v4, s82                                   // 00000000B8D4: D2850007 0000A504
	v_add_u32_e32 v88, v6, v7                                  // 00000000B8DC: 68B00F06
	v_readlane_b32 s82, v3, 38                                 // 00000000B8E0: D2890052 00014D03
	s_lshr_b32 s61, s82, 24                                    // 00000000B8E8: 8F3D9852
	s_and_b32 s82, s82, 0xffffff                               // 00000000B8EC: 8652FF52 00FFFFFF
	s_mul_i32 s82, s82, s71                                    // 00000000B8F4: 92524752
	s_mul_i32 s61, s60, s61                                    // 00000000B8F8: 923D3D3C
	s_add_u32 s82, s82, s61                                    // 00000000B8FC: 80523D52
	v_mul_lo_u32 v6, v5, s82                                   // 00000000B900: D2850006 0000A505
	v_readlane_b32 s82, v3, 39                                 // 00000000B908: D2890052 00014F03
	s_lshr_b32 s61, s82, 24                                    // 00000000B910: 8F3D9852
	s_and_b32 s82, s82, 0xffffff                               // 00000000B914: 8652FF52 00FFFFFF
	s_mul_i32 s82, s82, s71                                    // 00000000B91C: 92524752
	s_mul_i32 s61, s60, s61                                    // 00000000B920: 923D3D3C
	s_add_u32 s82, s82, s61                                    // 00000000B924: 80523D52
	v_mul_lo_u32 v7, v4, s82                                   // 00000000B928: D2850007 0000A504
	v_add_u32_e32 v89, v6, v7                                  // 00000000B930: 68B20F06
	v_and_b32_e32 v4, 31, v0                                   // 00000000B934: 2608009F
	v_lshrrev_b32_e32 v4, 1, v4                                // 00000000B938: 20080881
	s_cmp_eq_u32 s88, 0                                        // 00000000B93C: BF068058
	s_cselect_b32 s61, 2, 4                                    // 00000000B940: 853D8482
	v_mul_lo_u32 v4, v4, s61                                   // 00000000B944: D2850004 00007B04
	v_and_b32_e64 v5, v0, 1                                    // 00000000B94C: D1130005 00010300
	v_add_u32_e32 v4, v4, v5                                   // 00000000B954: 68080B04
	v_lshlrev_b32_e32 v4, 2, v4                                // 00000000B958: 24080882
	v_add_u32_e32 v70, v70, v4                                 // 00000000B95C: 688C0946
	v_add_u32_e32 v71, v71, v4                                 // 00000000B960: 688E0947
	v_add_u32_e32 v72, v72, v4                                 // 00000000B964: 68900948
	v_add_u32_e32 v73, v73, v4                                 // 00000000B968: 68920949
	v_add_u32_e32 v74, v74, v4                                 // 00000000B96C: 6894094A
	v_add_u32_e32 v75, v75, v4                                 // 00000000B970: 6896094B
	v_add_u32_e32 v76, v76, v4                                 // 00000000B974: 6898094C
	v_add_u32_e32 v77, v77, v4                                 // 00000000B978: 689A094D
	v_add_u32_e32 v78, v78, v4                                 // 00000000B97C: 689C094E
	v_add_u32_e32 v79, v79, v4                                 // 00000000B980: 689E094F
	v_add_u32_e32 v80, v80, v4                                 // 00000000B984: 68A00950
	v_add_u32_e32 v81, v81, v4                                 // 00000000B988: 68A20951
	v_add_u32_e32 v82, v82, v4                                 // 00000000B98C: 68A40952
	v_add_u32_e32 v83, v83, v4                                 // 00000000B990: 68A60953
	v_add_u32_e32 v84, v84, v4                                 // 00000000B994: 68A80954
	v_add_u32_e32 v85, v85, v4                                 // 00000000B998: 68AA0955
	v_add_u32_e32 v86, v86, v4                                 // 00000000B99C: 68AC0956
	v_add_u32_e32 v87, v87, v4                                 // 00000000B9A0: 68AE0957
	v_add_u32_e32 v88, v88, v4                                 // 00000000B9A4: 68B00958
	v_add_u32_e32 v89, v89, v4                                 // 00000000B9A8: 68B20959
	s_waitcnt lgkmcnt(0)                                       // 00000000B9AC: BF8CC07F
	s_barrier                                                  // 00000000B9B0: BF8A0000
	ds_read_b32 v92, v21                                       // 00000000B9B4: D86C0000 5C000015
	ds_read_b32 v93, v21 offset:64                             // 00000000B9BC: D86C0040 5D000015
	ds_read_b32 v94, v21 offset:2176                           // 00000000B9C4: D86C0880 5E000015
	ds_read_b32 v95, v21 offset:2240                           // 00000000B9CC: D86C08C0 5F000015
	ds_read_b32 v96, v21 offset:4352                           // 00000000B9D4: D86C1100 60000015
	ds_read_b32 v97, v21 offset:4416                           // 00000000B9DC: D86C1140 61000015
	ds_read_b32 v98, v21 offset:6528                           // 00000000B9E4: D86C1980 62000015
	ds_read_b32 v99, v21 offset:6592                           // 00000000B9EC: D86C19C0 63000015
	ds_read_b32 v100, v21 offset:8704                          // 00000000B9F4: D86C2200 64000015
	ds_read_b32 v101, v21 offset:8768                          // 00000000B9FC: D86C2240 65000015
	ds_read_b32 v102, v21 offset:10880                         // 00000000BA04: D86C2A80 66000015
	ds_read_b32 v103, v21 offset:10944                         // 00000000BA0C: D86C2AC0 67000015
	ds_read_b32 v104, v21 offset:13056                         // 00000000BA14: D86C3300 68000015
	ds_read_b32 v105, v21 offset:13120                         // 00000000BA1C: D86C3340 69000015
	ds_read_b32 v106, v21 offset:15232                         // 00000000BA24: D86C3B80 6A000015
	ds_read_b32 v107, v21 offset:15296                         // 00000000BA2C: D86C3BC0 6B000015
	ds_read_b32 v108, v21 offset:17408                         // 00000000BA34: D86C4400 6C000015
	ds_read_b32 v109, v21 offset:17472                         // 00000000BA3C: D86C4440 6D000015
	ds_read_b32 v110, v21 offset:19584                         // 00000000BA44: D86C4C80 6E000015
	ds_read_b32 v111, v21 offset:19648                         // 00000000BA4C: D86C4CC0 6F000015
	s_waitcnt lgkmcnt(0)                                       // 00000000BA54: BF8CC07F
	s_mov_b32 s36, -1                                          // 00000000BA58: BEA400C1
	s_mov_b32 s37, -1                                          // 00000000BA5C: BEA500C1
	v_mov_b32_e32 v7, 0                                        // 00000000BA60: 7E0E0280
	s_or_b32 s9, s9, 0x40000                                   // 00000000BA64: 8709FF09 00040000
	s_mov_b64 exec, s[36:37]                                   // 00000000BA6C: BEFE0124
	v_mov_b32_e32 v6, v70                                      // 00000000BA70: 7E0C0346
	s_mov_b64 s[60:61], 0                                      // 00000000BA74: BEBC0180
	v_readlane_b32 s82, v3, 0                                  // 00000000BA78: D2890052 00010103
	s_and_b32 s82, s82, 0xffffff                               // 00000000BA80: 8652FF52 00FFFFFF
	s_cmp_lt_u32 s82, s66                                      // 00000000BA88: BF0A4252
	s_cselect_b32 s20, s36, s60                                // 00000000BA8C: 85143C24
	v_readlane_b32 s82, v3, 1                                  // 00000000BA90: D2890052 00010303
	s_and_b32 s82, s82, 0xffffff                               // 00000000BA98: 8652FF52 00FFFFFF
	s_cmp_lt_u32 s82, s66                                      // 00000000BAA0: BF0A4252
	s_cselect_b32 s21, s36, s60                                // 00000000BAA4: 85153C24
	s_mov_b64 exec, s[20:21]                                   // 00000000BAA8: BEFE0114
	buffer_store_dword v92, v6, s[8:11], 0 offen               // 00000000BAAC: E0701000 80025C06
	s_mov_b64 exec, s[36:37]                                   // 00000000BAB4: BEFE0124
	v_mov_b32_e32 v6, v71                                      // 00000000BAB8: 7E0C0347
	s_mov_b64 s[60:61], 0                                      // 00000000BABC: BEBC0180
	v_readlane_b32 s82, v3, 2                                  // 00000000BAC0: D2890052 00010503
	s_and_b32 s82, s82, 0xffffff                               // 00000000BAC8: 8652FF52 00FFFFFF
	s_cmp_lt_u32 s82, s66                                      // 00000000BAD0: BF0A4252
	s_cselect_b32 s20, s36, s60                                // 00000000BAD4: 85143C24
	v_readlane_b32 s82, v3, 3                                  // 00000000BAD8: D2890052 00010703
	s_and_b32 s82, s82, 0xffffff                               // 00000000BAE0: 8652FF52 00FFFFFF
	s_cmp_lt_u32 s82, s66                                      // 00000000BAE8: BF0A4252
	s_cselect_b32 s21, s36, s60                                // 00000000BAEC: 85153C24
	s_mov_b64 exec, s[20:21]                                   // 00000000BAF0: BEFE0114
	buffer_store_dword v93, v6, s[8:11], 0 offen               // 00000000BAF4: E0701000 80025D06
	s_mov_b64 exec, s[36:37]                                   // 00000000BAFC: BEFE0124
	v_mov_b32_e32 v6, v72                                      // 00000000BB00: 7E0C0348
	s_mov_b64 s[60:61], 0                                      // 00000000BB04: BEBC0180
	v_readlane_b32 s82, v3, 4                                  // 00000000BB08: D2890052 00010903
	s_and_b32 s82, s82, 0xffffff                               // 00000000BB10: 8652FF52 00FFFFFF
	s_cmp_lt_u32 s82, s66                                      // 00000000BB18: BF0A4252
	s_cselect_b32 s20, s36, s60                                // 00000000BB1C: 85143C24
	v_readlane_b32 s82, v3, 5                                  // 00000000BB20: D2890052 00010B03
	s_and_b32 s82, s82, 0xffffff                               // 00000000BB28: 8652FF52 00FFFFFF
	s_cmp_lt_u32 s82, s66                                      // 00000000BB30: BF0A4252
	s_cselect_b32 s21, s36, s60                                // 00000000BB34: 85153C24
	s_mov_b64 exec, s[20:21]                                   // 00000000BB38: BEFE0114
	buffer_store_dword v94, v6, s[8:11], 0 offen               // 00000000BB3C: E0701000 80025E06
	s_mov_b64 exec, s[36:37]                                   // 00000000BB44: BEFE0124
	v_mov_b32_e32 v6, v73                                      // 00000000BB48: 7E0C0349
	s_mov_b64 s[60:61], 0                                      // 00000000BB4C: BEBC0180
	v_readlane_b32 s82, v3, 6                                  // 00000000BB50: D2890052 00010D03
	s_and_b32 s82, s82, 0xffffff                               // 00000000BB58: 8652FF52 00FFFFFF
	s_cmp_lt_u32 s82, s66                                      // 00000000BB60: BF0A4252
	s_cselect_b32 s20, s36, s60                                // 00000000BB64: 85143C24
	v_readlane_b32 s82, v3, 7                                  // 00000000BB68: D2890052 00010F03
	s_and_b32 s82, s82, 0xffffff                               // 00000000BB70: 8652FF52 00FFFFFF
	s_cmp_lt_u32 s82, s66                                      // 00000000BB78: BF0A4252
	s_cselect_b32 s21, s36, s60                                // 00000000BB7C: 85153C24
	s_mov_b64 exec, s[20:21]                                   // 00000000BB80: BEFE0114
	buffer_store_dword v95, v6, s[8:11], 0 offen               // 00000000BB84: E0701000 80025F06
	s_mov_b64 exec, s[36:37]                                   // 00000000BB8C: BEFE0124
	v_mov_b32_e32 v6, v74                                      // 00000000BB90: 7E0C034A
	s_mov_b64 s[60:61], 0                                      // 00000000BB94: BEBC0180
	v_readlane_b32 s82, v3, 8                                  // 00000000BB98: D2890052 00011103
	s_and_b32 s82, s82, 0xffffff                               // 00000000BBA0: 8652FF52 00FFFFFF
	s_cmp_lt_u32 s82, s66                                      // 00000000BBA8: BF0A4252
	s_cselect_b32 s20, s36, s60                                // 00000000BBAC: 85143C24
	v_readlane_b32 s82, v3, 9                                  // 00000000BBB0: D2890052 00011303
	s_and_b32 s82, s82, 0xffffff                               // 00000000BBB8: 8652FF52 00FFFFFF
	s_cmp_lt_u32 s82, s66                                      // 00000000BBC0: BF0A4252
	s_cselect_b32 s21, s36, s60                                // 00000000BBC4: 85153C24
	s_mov_b64 exec, s[20:21]                                   // 00000000BBC8: BEFE0114
	buffer_store_dword v96, v6, s[8:11], 0 offen               // 00000000BBCC: E0701000 80026006
	s_mov_b64 exec, s[36:37]                                   // 00000000BBD4: BEFE0124
	v_mov_b32_e32 v6, v75                                      // 00000000BBD8: 7E0C034B
	s_mov_b64 s[60:61], 0                                      // 00000000BBDC: BEBC0180
	v_readlane_b32 s82, v3, 10                                 // 00000000BBE0: D2890052 00011503
	s_and_b32 s82, s82, 0xffffff                               // 00000000BBE8: 8652FF52 00FFFFFF
	s_cmp_lt_u32 s82, s66                                      // 00000000BBF0: BF0A4252
	s_cselect_b32 s20, s36, s60                                // 00000000BBF4: 85143C24
	v_readlane_b32 s82, v3, 11                                 // 00000000BBF8: D2890052 00011703
	s_and_b32 s82, s82, 0xffffff                               // 00000000BC00: 8652FF52 00FFFFFF
	s_cmp_lt_u32 s82, s66                                      // 00000000BC08: BF0A4252
	s_cselect_b32 s21, s36, s60                                // 00000000BC0C: 85153C24
	s_mov_b64 exec, s[20:21]                                   // 00000000BC10: BEFE0114
	buffer_store_dword v97, v6, s[8:11], 0 offen               // 00000000BC14: E0701000 80026106
	s_mov_b64 exec, s[36:37]                                   // 00000000BC1C: BEFE0124
	v_mov_b32_e32 v6, v76                                      // 00000000BC20: 7E0C034C
	s_mov_b64 s[60:61], 0                                      // 00000000BC24: BEBC0180
	v_readlane_b32 s82, v3, 12                                 // 00000000BC28: D2890052 00011903
	s_and_b32 s82, s82, 0xffffff                               // 00000000BC30: 8652FF52 00FFFFFF
	s_cmp_lt_u32 s82, s66                                      // 00000000BC38: BF0A4252
	s_cselect_b32 s20, s36, s60                                // 00000000BC3C: 85143C24
	v_readlane_b32 s82, v3, 13                                 // 00000000BC40: D2890052 00011B03
	s_and_b32 s82, s82, 0xffffff                               // 00000000BC48: 8652FF52 00FFFFFF
	s_cmp_lt_u32 s82, s66                                      // 00000000BC50: BF0A4252
	s_cselect_b32 s21, s36, s60                                // 00000000BC54: 85153C24
	s_mov_b64 exec, s[20:21]                                   // 00000000BC58: BEFE0114
	buffer_store_dword v98, v6, s[8:11], 0 offen               // 00000000BC5C: E0701000 80026206
	s_mov_b64 exec, s[36:37]                                   // 00000000BC64: BEFE0124
	v_mov_b32_e32 v6, v77                                      // 00000000BC68: 7E0C034D
	s_mov_b64 s[60:61], 0                                      // 00000000BC6C: BEBC0180
	v_readlane_b32 s82, v3, 14                                 // 00000000BC70: D2890052 00011D03
	s_and_b32 s82, s82, 0xffffff                               // 00000000BC78: 8652FF52 00FFFFFF
	s_cmp_lt_u32 s82, s66                                      // 00000000BC80: BF0A4252
	s_cselect_b32 s20, s36, s60                                // 00000000BC84: 85143C24
	v_readlane_b32 s82, v3, 15                                 // 00000000BC88: D2890052 00011F03
	s_and_b32 s82, s82, 0xffffff                               // 00000000BC90: 8652FF52 00FFFFFF
	s_cmp_lt_u32 s82, s66                                      // 00000000BC98: BF0A4252
	s_cselect_b32 s21, s36, s60                                // 00000000BC9C: 85153C24
	s_mov_b64 exec, s[20:21]                                   // 00000000BCA0: BEFE0114
	buffer_store_dword v99, v6, s[8:11], 0 offen               // 00000000BCA4: E0701000 80026306
	s_mov_b64 exec, s[36:37]                                   // 00000000BCAC: BEFE0124
	v_mov_b32_e32 v6, v78                                      // 00000000BCB0: 7E0C034E
	s_mov_b64 s[60:61], 0                                      // 00000000BCB4: BEBC0180
	v_readlane_b32 s82, v3, 16                                 // 00000000BCB8: D2890052 00012103
	s_and_b32 s82, s82, 0xffffff                               // 00000000BCC0: 8652FF52 00FFFFFF
	s_cmp_lt_u32 s82, s66                                      // 00000000BCC8: BF0A4252
	s_cselect_b32 s20, s36, s60                                // 00000000BCCC: 85143C24
	v_readlane_b32 s82, v3, 17                                 // 00000000BCD0: D2890052 00012303
	s_and_b32 s82, s82, 0xffffff                               // 00000000BCD8: 8652FF52 00FFFFFF
	s_cmp_lt_u32 s82, s66                                      // 00000000BCE0: BF0A4252
	s_cselect_b32 s21, s36, s60                                // 00000000BCE4: 85153C24
	s_mov_b64 exec, s[20:21]                                   // 00000000BCE8: BEFE0114
	buffer_store_dword v100, v6, s[8:11], 0 offen              // 00000000BCEC: E0701000 80026406
	s_mov_b64 exec, s[36:37]                                   // 00000000BCF4: BEFE0124
	v_mov_b32_e32 v6, v79                                      // 00000000BCF8: 7E0C034F
	s_mov_b64 s[60:61], 0                                      // 00000000BCFC: BEBC0180
	v_readlane_b32 s82, v3, 18                                 // 00000000BD00: D2890052 00012503
	s_and_b32 s82, s82, 0xffffff                               // 00000000BD08: 8652FF52 00FFFFFF
	s_cmp_lt_u32 s82, s66                                      // 00000000BD10: BF0A4252
	s_cselect_b32 s20, s36, s60                                // 00000000BD14: 85143C24
	v_readlane_b32 s82, v3, 19                                 // 00000000BD18: D2890052 00012703
	s_and_b32 s82, s82, 0xffffff                               // 00000000BD20: 8652FF52 00FFFFFF
	s_cmp_lt_u32 s82, s66                                      // 00000000BD28: BF0A4252
	s_cselect_b32 s21, s36, s60                                // 00000000BD2C: 85153C24
	s_mov_b64 exec, s[20:21]                                   // 00000000BD30: BEFE0114
	buffer_store_dword v101, v6, s[8:11], 0 offen              // 00000000BD34: E0701000 80026506
	s_mov_b64 exec, s[36:37]                                   // 00000000BD3C: BEFE0124
	v_mov_b32_e32 v6, v80                                      // 00000000BD40: 7E0C0350
	s_mov_b64 s[60:61], 0                                      // 00000000BD44: BEBC0180
	v_readlane_b32 s82, v3, 20                                 // 00000000BD48: D2890052 00012903
	s_and_b32 s82, s82, 0xffffff                               // 00000000BD50: 8652FF52 00FFFFFF
	s_cmp_lt_u32 s82, s66                                      // 00000000BD58: BF0A4252
	s_cselect_b32 s20, s36, s60                                // 00000000BD5C: 85143C24
	v_readlane_b32 s82, v3, 21                                 // 00000000BD60: D2890052 00012B03
	s_and_b32 s82, s82, 0xffffff                               // 00000000BD68: 8652FF52 00FFFFFF
	s_cmp_lt_u32 s82, s66                                      // 00000000BD70: BF0A4252
	s_cselect_b32 s21, s36, s60                                // 00000000BD74: 85153C24
	s_mov_b64 exec, s[20:21]                                   // 00000000BD78: BEFE0114
	buffer_store_dword v102, v6, s[8:11], 0 offen              // 00000000BD7C: E0701000 80026606
	s_mov_b64 exec, s[36:37]                                   // 00000000BD84: BEFE0124
	v_mov_b32_e32 v6, v81                                      // 00000000BD88: 7E0C0351
	s_mov_b64 s[60:61], 0                                      // 00000000BD8C: BEBC0180
	v_readlane_b32 s82, v3, 22                                 // 00000000BD90: D2890052 00012D03
	s_and_b32 s82, s82, 0xffffff                               // 00000000BD98: 8652FF52 00FFFFFF
	s_cmp_lt_u32 s82, s66                                      // 00000000BDA0: BF0A4252
	s_cselect_b32 s20, s36, s60                                // 00000000BDA4: 85143C24
	v_readlane_b32 s82, v3, 23                                 // 00000000BDA8: D2890052 00012F03
	s_and_b32 s82, s82, 0xffffff                               // 00000000BDB0: 8652FF52 00FFFFFF
	s_cmp_lt_u32 s82, s66                                      // 00000000BDB8: BF0A4252
	s_cselect_b32 s21, s36, s60                                // 00000000BDBC: 85153C24
	s_mov_b64 exec, s[20:21]                                   // 00000000BDC0: BEFE0114
	buffer_store_dword v103, v6, s[8:11], 0 offen              // 00000000BDC4: E0701000 80026706
	s_mov_b64 exec, s[36:37]                                   // 00000000BDCC: BEFE0124
	v_mov_b32_e32 v6, v82                                      // 00000000BDD0: 7E0C0352
	s_mov_b64 s[60:61], 0                                      // 00000000BDD4: BEBC0180
	v_readlane_b32 s82, v3, 24                                 // 00000000BDD8: D2890052 00013103
	s_and_b32 s82, s82, 0xffffff                               // 00000000BDE0: 8652FF52 00FFFFFF
	s_cmp_lt_u32 s82, s66                                      // 00000000BDE8: BF0A4252
	s_cselect_b32 s20, s36, s60                                // 00000000BDEC: 85143C24
	v_readlane_b32 s82, v3, 25                                 // 00000000BDF0: D2890052 00013303
	s_and_b32 s82, s82, 0xffffff                               // 00000000BDF8: 8652FF52 00FFFFFF
	s_cmp_lt_u32 s82, s66                                      // 00000000BE00: BF0A4252
	s_cselect_b32 s21, s36, s60                                // 00000000BE04: 85153C24
	s_mov_b64 exec, s[20:21]                                   // 00000000BE08: BEFE0114
	buffer_store_dword v104, v6, s[8:11], 0 offen              // 00000000BE0C: E0701000 80026806
	s_mov_b64 exec, s[36:37]                                   // 00000000BE14: BEFE0124
	v_mov_b32_e32 v6, v83                                      // 00000000BE18: 7E0C0353
	s_mov_b64 s[60:61], 0                                      // 00000000BE1C: BEBC0180
	v_readlane_b32 s82, v3, 26                                 // 00000000BE20: D2890052 00013503
	s_and_b32 s82, s82, 0xffffff                               // 00000000BE28: 8652FF52 00FFFFFF
	s_cmp_lt_u32 s82, s66                                      // 00000000BE30: BF0A4252
	s_cselect_b32 s20, s36, s60                                // 00000000BE34: 85143C24
	v_readlane_b32 s82, v3, 27                                 // 00000000BE38: D2890052 00013703
	s_and_b32 s82, s82, 0xffffff                               // 00000000BE40: 8652FF52 00FFFFFF
	s_cmp_lt_u32 s82, s66                                      // 00000000BE48: BF0A4252
	s_cselect_b32 s21, s36, s60                                // 00000000BE4C: 85153C24
	s_mov_b64 exec, s[20:21]                                   // 00000000BE50: BEFE0114
	buffer_store_dword v105, v6, s[8:11], 0 offen              // 00000000BE54: E0701000 80026906
	s_mov_b64 exec, s[36:37]                                   // 00000000BE5C: BEFE0124
	v_mov_b32_e32 v6, v84                                      // 00000000BE60: 7E0C0354
	s_mov_b64 s[60:61], 0                                      // 00000000BE64: BEBC0180
	v_readlane_b32 s82, v3, 28                                 // 00000000BE68: D2890052 00013903
	s_and_b32 s82, s82, 0xffffff                               // 00000000BE70: 8652FF52 00FFFFFF
	s_cmp_lt_u32 s82, s66                                      // 00000000BE78: BF0A4252
	s_cselect_b32 s20, s36, s60                                // 00000000BE7C: 85143C24
	v_readlane_b32 s82, v3, 29                                 // 00000000BE80: D2890052 00013B03
	s_and_b32 s82, s82, 0xffffff                               // 00000000BE88: 8652FF52 00FFFFFF
	s_cmp_lt_u32 s82, s66                                      // 00000000BE90: BF0A4252
	s_cselect_b32 s21, s36, s60                                // 00000000BE94: 85153C24
	s_mov_b64 exec, s[20:21]                                   // 00000000BE98: BEFE0114
	buffer_store_dword v106, v6, s[8:11], 0 offen              // 00000000BE9C: E0701000 80026A06
	s_mov_b64 exec, s[36:37]                                   // 00000000BEA4: BEFE0124
	v_mov_b32_e32 v6, v85                                      // 00000000BEA8: 7E0C0355
	s_mov_b64 s[60:61], 0                                      // 00000000BEAC: BEBC0180
	v_readlane_b32 s82, v3, 30                                 // 00000000BEB0: D2890052 00013D03
	s_and_b32 s82, s82, 0xffffff                               // 00000000BEB8: 8652FF52 00FFFFFF
	s_cmp_lt_u32 s82, s66                                      // 00000000BEC0: BF0A4252
	s_cselect_b32 s20, s36, s60                                // 00000000BEC4: 85143C24
	v_readlane_b32 s82, v3, 31                                 // 00000000BEC8: D2890052 00013F03
	s_and_b32 s82, s82, 0xffffff                               // 00000000BED0: 8652FF52 00FFFFFF
	s_cmp_lt_u32 s82, s66                                      // 00000000BED8: BF0A4252
	s_cselect_b32 s21, s36, s60                                // 00000000BEDC: 85153C24
	s_mov_b64 exec, s[20:21]                                   // 00000000BEE0: BEFE0114
	buffer_store_dword v107, v6, s[8:11], 0 offen              // 00000000BEE4: E0701000 80026B06
	s_mov_b64 exec, s[36:37]                                   // 00000000BEEC: BEFE0124
	v_mov_b32_e32 v6, v86                                      // 00000000BEF0: 7E0C0356
	s_mov_b64 s[60:61], 0                                      // 00000000BEF4: BEBC0180
	v_readlane_b32 s82, v3, 32                                 // 00000000BEF8: D2890052 00014103
	s_and_b32 s82, s82, 0xffffff                               // 00000000BF00: 8652FF52 00FFFFFF
	s_cmp_lt_u32 s82, s66                                      // 00000000BF08: BF0A4252
	s_cselect_b32 s20, s36, s60                                // 00000000BF0C: 85143C24
	v_readlane_b32 s82, v3, 33                                 // 00000000BF10: D2890052 00014303
	s_and_b32 s82, s82, 0xffffff                               // 00000000BF18: 8652FF52 00FFFFFF
	s_cmp_lt_u32 s82, s66                                      // 00000000BF20: BF0A4252
	s_cselect_b32 s21, s36, s60                                // 00000000BF24: 85153C24
	s_mov_b64 exec, s[20:21]                                   // 00000000BF28: BEFE0114
	buffer_store_dword v108, v6, s[8:11], 0 offen              // 00000000BF2C: E0701000 80026C06
	s_mov_b64 exec, s[36:37]                                   // 00000000BF34: BEFE0124
	v_mov_b32_e32 v6, v87                                      // 00000000BF38: 7E0C0357
	s_mov_b64 s[60:61], 0                                      // 00000000BF3C: BEBC0180
	v_readlane_b32 s82, v3, 34                                 // 00000000BF40: D2890052 00014503
	s_and_b32 s82, s82, 0xffffff                               // 00000000BF48: 8652FF52 00FFFFFF
	s_cmp_lt_u32 s82, s66                                      // 00000000BF50: BF0A4252
	s_cselect_b32 s20, s36, s60                                // 00000000BF54: 85143C24
	v_readlane_b32 s82, v3, 35                                 // 00000000BF58: D2890052 00014703
	s_and_b32 s82, s82, 0xffffff                               // 00000000BF60: 8652FF52 00FFFFFF
	s_cmp_lt_u32 s82, s66                                      // 00000000BF68: BF0A4252
	s_cselect_b32 s21, s36, s60                                // 00000000BF6C: 85153C24
	s_mov_b64 exec, s[20:21]                                   // 00000000BF70: BEFE0114
	buffer_store_dword v109, v6, s[8:11], 0 offen              // 00000000BF74: E0701000 80026D06
	s_mov_b64 exec, s[36:37]                                   // 00000000BF7C: BEFE0124
	v_mov_b32_e32 v6, v88                                      // 00000000BF80: 7E0C0358
	s_mov_b64 s[60:61], 0                                      // 00000000BF84: BEBC0180
	v_readlane_b32 s82, v3, 36                                 // 00000000BF88: D2890052 00014903
	s_and_b32 s82, s82, 0xffffff                               // 00000000BF90: 8652FF52 00FFFFFF
	s_cmp_lt_u32 s82, s66                                      // 00000000BF98: BF0A4252
	s_cselect_b32 s20, s36, s60                                // 00000000BF9C: 85143C24
	v_readlane_b32 s82, v3, 37                                 // 00000000BFA0: D2890052 00014B03
	s_and_b32 s82, s82, 0xffffff                               // 00000000BFA8: 8652FF52 00FFFFFF
	s_cmp_lt_u32 s82, s66                                      // 00000000BFB0: BF0A4252
	s_cselect_b32 s21, s36, s60                                // 00000000BFB4: 85153C24
	s_mov_b64 exec, s[20:21]                                   // 00000000BFB8: BEFE0114
	buffer_store_dword v110, v6, s[8:11], 0 offen              // 00000000BFBC: E0701000 80026E06
	s_mov_b64 exec, s[36:37]                                   // 00000000BFC4: BEFE0124
	v_mov_b32_e32 v6, v89                                      // 00000000BFC8: 7E0C0359
	s_mov_b64 s[60:61], 0                                      // 00000000BFCC: BEBC0180
	v_readlane_b32 s82, v3, 38                                 // 00000000BFD0: D2890052 00014D03
	s_and_b32 s82, s82, 0xffffff                               // 00000000BFD8: 8652FF52 00FFFFFF
	s_cmp_lt_u32 s82, s66                                      // 00000000BFE0: BF0A4252
	s_cselect_b32 s20, s36, s60                                // 00000000BFE4: 85143C24
	v_readlane_b32 s82, v3, 39                                 // 00000000BFE8: D2890052 00014F03
	s_and_b32 s82, s82, 0xffffff                               // 00000000BFF0: 8652FF52 00FFFFFF
	s_cmp_lt_u32 s82, s66                                      // 00000000BFF8: BF0A4252
	s_cselect_b32 s21, s36, s60                                // 00000000BFFC: 85153C24
	s_mov_b64 exec, s[20:21]                                   // 00000000C000: BEFE0114
	buffer_store_dword v111, v6, s[8:11], 0 offen              // 00000000C004: E0701000 80026F06
	s_mov_b64 exec, s[36:37]                                   // 00000000C00C: BEFE0124
	s_cmp_eq_u32 s7, 0                                         // 00000000C010: BF068007
	s_cbranch_scc0 label_5BB8                                  // 00000000C014: BF84362F
	s_waitcnt vmcnt(20)                                        // 00000000C018: BF8C4F74
	s_mov_b32 s8, s90                                          // 00000000C01C: BE88005A
	s_mov_b32 s9, s91                                          // 00000000C020: BE89005B
	s_mul_i32 s60, s66, s71                                    // 00000000C024: 923C4742
	s_add_u32 s8, s60, s8                                      // 00000000C028: 8008083C
	s_addc_u32 s9, 0, s9                                       // 00000000C02C: 82090980
	s_lshr_b32 s71, s71, 5                                     // 00000000C030: 8F478547
	s_mul_i32 s60, s66, s71                                    // 00000000C034: 923C4742
	s_mov_b32 s10, s60                                         // 00000000C038: BE8A003C
	s_lshr_b32 s61, s65, 5                                     // 00000000C03C: 8F3D8541
	s_mul_i32 s60, s2, 4                                       // 00000000C040: 923C8402
	v_lshrrev_b32_e32 v4, 24, v30                              // 00000000C044: 20083C98
	v_mul_lo_u32 v4, s61, v4                                   // 00000000C048: D2850004 0002083D
	v_and_b32_e32 v30, 0xffffff, v30                           // 00000000C050: 263C3CFF 00FFFFFF
	v_mul_lo_u32 v30, s71, v30                                 // 00000000C058: D285001E 00023C47
	v_add_u32_e32 v30, v4, v30                                 // 00000000C060: 683C3D04
	v_add_u32_e32 v30, s60, v30                                // 00000000C064: 683C3C3C
	v_lshrrev_b32_e32 v4, 24, v31                              // 00000000C068: 20083E98
	v_mul_lo_u32 v4, s61, v4                                   // 00000000C06C: D2850004 0002083D
	v_and_b32_e32 v31, 0xffffff, v31                           // 00000000C074: 263E3EFF 00FFFFFF
	v_mul_lo_u32 v31, s71, v31                                 // 00000000C07C: D285001F 00023E47
	v_add_u32_e32 v31, v4, v31                                 // 00000000C084: 683E3F04
	v_add_u32_e32 v31, s60, v31                                // 00000000C088: 683E3E3C
	v_lshrrev_b32_e32 v4, 24, v32                              // 00000000C08C: 20084098
	v_mul_lo_u32 v4, s61, v4                                   // 00000000C090: D2850004 0002083D
	v_and_b32_e32 v32, 0xffffff, v32                           // 00000000C098: 264040FF 00FFFFFF
	v_mul_lo_u32 v32, s71, v32                                 // 00000000C0A0: D2850020 00024047
	v_add_u32_e32 v32, v4, v32                                 // 00000000C0A8: 68404104
	v_add_u32_e32 v32, s60, v32                                // 00000000C0AC: 6840403C
	v_lshrrev_b32_e32 v4, 24, v33                              // 00000000C0B0: 20084298
	v_mul_lo_u32 v4, s61, v4                                   // 00000000C0B4: D2850004 0002083D
	v_and_b32_e32 v33, 0xffffff, v33                           // 00000000C0BC: 264242FF 00FFFFFF
	v_mul_lo_u32 v33, s71, v33                                 // 00000000C0C4: D2850021 00024247
	v_add_u32_e32 v33, v4, v33                                 // 00000000C0CC: 68424304
	v_add_u32_e32 v33, s60, v33                                // 00000000C0D0: 6842423C
	v_lshrrev_b32_e32 v4, 24, v34                              // 00000000C0D4: 20084498
	v_mul_lo_u32 v4, s61, v4                                   // 00000000C0D8: D2850004 0002083D
	v_and_b32_e32 v34, 0xffffff, v34                           // 00000000C0E0: 264444FF 00FFFFFF
	v_mul_lo_u32 v34, s71, v34                                 // 00000000C0E8: D2850022 00024447
	v_add_u32_e32 v34, v4, v34                                 // 00000000C0F0: 68444504
	v_add_u32_e32 v34, s60, v34                                // 00000000C0F4: 6844443C
	v_lshrrev_b32_e32 v4, 24, v35                              // 00000000C0F8: 20084698
	v_mul_lo_u32 v4, s61, v4                                   // 00000000C0FC: D2850004 0002083D
	v_and_b32_e32 v35, 0xffffff, v35                           // 00000000C104: 264646FF 00FFFFFF
	v_mul_lo_u32 v35, s71, v35                                 // 00000000C10C: D2850023 00024647
	v_add_u32_e32 v35, v4, v35                                 // 00000000C114: 68464704
	v_add_u32_e32 v35, s60, v35                                // 00000000C118: 6846463C
	v_lshrrev_b32_e32 v4, 24, v36                              // 00000000C11C: 20084898
	v_mul_lo_u32 v4, s61, v4                                   // 00000000C120: D2850004 0002083D
	v_and_b32_e32 v36, 0xffffff, v36                           // 00000000C128: 264848FF 00FFFFFF
	v_mul_lo_u32 v36, s71, v36                                 // 00000000C130: D2850024 00024847
	v_add_u32_e32 v36, v4, v36                                 // 00000000C138: 68484904
	v_add_u32_e32 v36, s60, v36                                // 00000000C13C: 6848483C
	v_lshrrev_b32_e32 v4, 24, v37                              // 00000000C140: 20084A98
	v_mul_lo_u32 v4, s61, v4                                   // 00000000C144: D2850004 0002083D
	v_and_b32_e32 v37, 0xffffff, v37                           // 00000000C14C: 264A4AFF 00FFFFFF
	v_mul_lo_u32 v37, s71, v37                                 // 00000000C154: D2850025 00024A47
	v_add_u32_e32 v37, v4, v37                                 // 00000000C15C: 684A4B04
	v_add_u32_e32 v37, s60, v37                                // 00000000C160: 684A4A3C
	v_lshrrev_b32_e32 v4, 24, v38                              // 00000000C164: 20084C98
	v_mul_lo_u32 v4, s61, v4                                   // 00000000C168: D2850004 0002083D
	v_and_b32_e32 v38, 0xffffff, v38                           // 00000000C170: 264C4CFF 00FFFFFF
	v_mul_lo_u32 v38, s71, v38                                 // 00000000C178: D2850026 00024C47
	v_add_u32_e32 v38, v4, v38                                 // 00000000C180: 684C4D04
	v_add_u32_e32 v38, s60, v38                                // 00000000C184: 684C4C3C
	v_lshrrev_b32_e32 v4, 24, v39                              // 00000000C188: 20084E98
	v_mul_lo_u32 v4, s61, v4                                   // 00000000C18C: D2850004 0002083D
	v_and_b32_e32 v39, 0xffffff, v39                           // 00000000C194: 264E4EFF 00FFFFFF
	v_mul_lo_u32 v39, s71, v39                                 // 00000000C19C: D2850027 00024E47
	v_add_u32_e32 v39, v4, v39                                 // 00000000C1A4: 684E4F04
	v_add_u32_e32 v39, s60, v39                                // 00000000C1A8: 684E4E3C
	s_mov_b64 exec, 0xffff                                     // 00000000C1AC: BEFE01FF 0000FFFF
	buffer_store_dword v172, v30, s[8:11], 0 offen             // 00000000C1B4: E0701000 8002AC1E
	buffer_store_dword v173, v31, s[8:11], 0 offen             // 00000000C1BC: E0701000 8002AD1F
	buffer_store_dword v174, v32, s[8:11], 0 offen             // 00000000C1C4: E0701000 8002AE20
	buffer_store_dword v175, v33, s[8:11], 0 offen             // 00000000C1CC: E0701000 8002AF21
	buffer_store_dword v176, v34, s[8:11], 0 offen             // 00000000C1D4: E0701000 8002B022
	buffer_store_dword v177, v35, s[8:11], 0 offen             // 00000000C1DC: E0701000 8002B123
	buffer_store_dword v178, v36, s[8:11], 0 offen             // 00000000C1E4: E0701000 8002B224
	buffer_store_dword v179, v37, s[8:11], 0 offen             // 00000000C1EC: E0701000 8002B325
	buffer_store_dword v180, v38, s[8:11], 0 offen             // 00000000C1F4: E0701000 8002B426
	buffer_store_dword v181, v39, s[8:11], 0 offen             // 00000000C1FC: E0701000 8002B527
	s_mov_b64 exec, s[36:37]                                   // 00000000C204: BEFE0124
	s_branch label_5BB8                                        // 00000000C208: BF8235B2

000000000000c20c <label_2603>:
	ds_write_b64 v20, v[92:93]                                 // 00000000C20C: D89A0000 00005C14
	ds_write_b64 v20, v[96:97] offset:4352                     // 00000000C214: D89A1100 00006014
	ds_write_b64 v20, v[100:101] offset:8704                   // 00000000C21C: D89A2200 00006414
	ds_write_b64 v20, v[104:105] offset:13056                  // 00000000C224: D89A3300 00006814
	ds_write_b64 v20, v[108:109] offset:17408                  // 00000000C22C: D89A4400 00006C14
	ds_write_b64 v20, v[112:113] offset:21760                  // 00000000C234: D89A5500 00007014
	ds_write_b64 v20, v[116:117] offset:26112                  // 00000000C23C: D89A6600 00007414
	ds_write_b64 v20, v[120:121] offset:30464                  // 00000000C244: D89A7700 00007814
	ds_write_b64 v20, v[124:125] offset:34816                  // 00000000C24C: D89A8800 00007C14
	ds_write_b64 v20, v[128:129] offset:39168                  // 00000000C254: D89A9900 00008014
	ds_write_b64 v20, v[132:133] offset:2176                   // 00000000C25C: D89A0880 00008414
	ds_write_b64 v20, v[136:137] offset:6528                   // 00000000C264: D89A1980 00008814
	ds_write_b64 v20, v[140:141] offset:10880                  // 00000000C26C: D89A2A80 00008C14
	ds_write_b64 v20, v[144:145] offset:15232                  // 00000000C274: D89A3B80 00009014
	ds_write_b64 v20, v[148:149] offset:19584                  // 00000000C27C: D89A4C80 00009414
	ds_write_b64 v20, v[152:153] offset:23936                  // 00000000C284: D89A5D80 00009814
	ds_write_b64 v20, v[156:157] offset:28288                  // 00000000C28C: D89A6E80 00009C14
	ds_write_b64 v20, v[160:161] offset:32640                  // 00000000C294: D89A7F80 0000A014
	ds_write_b64 v20, v[164:165] offset:36992                  // 00000000C29C: D89A9080 0000A414
	ds_write_b64 v20, v[168:169] offset:41344                  // 00000000C2A4: D89AA180 0000A814
	v_lshrrev_b32_e32 v4, 5, v0                                // 00000000C2AC: 20080085
	v_xor_b32_e32 v5, 1, v4                                    // 00000000C2B0: 2A0A0881
	s_mul_i32 s60, s65, 1                                      // 00000000C2B4: 923C8141
	s_cmp_eq_u32 s88, 0                                        // 00000000C2B8: BF068058
	s_cselect_b32 s61, 1, 8                                    // 00000000C2BC: 853D8881
	s_mul_i32 s60, s61, s60                                    // 00000000C2C0: 923C3C3D
	v_readlane_b32 s82, v3, 0                                  // 00000000C2C4: D2890052 00010103
	s_lshr_b32 s61, s82, 24                                    // 00000000C2CC: 8F3D9852
	s_and_b32 s82, s82, 0xffffff                               // 00000000C2D0: 8652FF52 00FFFFFF
	s_mul_i32 s82, s82, s71                                    // 00000000C2D8: 92524752
	s_mul_i32 s61, s60, s61                                    // 00000000C2DC: 923D3D3C
	s_add_u32 s82, s82, s61                                    // 00000000C2E0: 80523D52
	v_mul_lo_u32 v6, v5, s82                                   // 00000000C2E4: D2850006 0000A505
	v_readlane_b32 s82, v3, 1                                  // 00000000C2EC: D2890052 00010303
	s_lshr_b32 s61, s82, 24                                    // 00000000C2F4: 8F3D9852
	s_and_b32 s82, s82, 0xffffff                               // 00000000C2F8: 8652FF52 00FFFFFF
	s_mul_i32 s82, s82, s71                                    // 00000000C300: 92524752
	s_mul_i32 s61, s60, s61                                    // 00000000C304: 923D3D3C
	s_add_u32 s82, s82, s61                                    // 00000000C308: 80523D52
	v_mul_lo_u32 v7, v4, s82                                   // 00000000C30C: D2850007 0000A504
	v_add_u32_e32 v70, v6, v7                                  // 00000000C314: 688C0F06
	v_readlane_b32 s82, v3, 2                                  // 00000000C318: D2890052 00010503
	s_lshr_b32 s61, s82, 24                                    // 00000000C320: 8F3D9852
	s_and_b32 s82, s82, 0xffffff                               // 00000000C324: 8652FF52 00FFFFFF
	s_mul_i32 s82, s82, s71                                    // 00000000C32C: 92524752
	s_mul_i32 s61, s60, s61                                    // 00000000C330: 923D3D3C
	s_add_u32 s82, s82, s61                                    // 00000000C334: 80523D52
	v_mul_lo_u32 v6, v5, s82                                   // 00000000C338: D2850006 0000A505
	v_readlane_b32 s82, v3, 3                                  // 00000000C340: D2890052 00010703
	s_lshr_b32 s61, s82, 24                                    // 00000000C348: 8F3D9852
	s_and_b32 s82, s82, 0xffffff                               // 00000000C34C: 8652FF52 00FFFFFF
	s_mul_i32 s82, s82, s71                                    // 00000000C354: 92524752
	s_mul_i32 s61, s60, s61                                    // 00000000C358: 923D3D3C
	s_add_u32 s82, s82, s61                                    // 00000000C35C: 80523D52
	v_mul_lo_u32 v7, v4, s82                                   // 00000000C360: D2850007 0000A504
	v_add_u32_e32 v71, v6, v7                                  // 00000000C368: 688E0F06
	v_readlane_b32 s82, v3, 4                                  // 00000000C36C: D2890052 00010903
	s_lshr_b32 s61, s82, 24                                    // 00000000C374: 8F3D9852
	s_and_b32 s82, s82, 0xffffff                               // 00000000C378: 8652FF52 00FFFFFF
	s_mul_i32 s82, s82, s71                                    // 00000000C380: 92524752
	s_mul_i32 s61, s60, s61                                    // 00000000C384: 923D3D3C
	s_add_u32 s82, s82, s61                                    // 00000000C388: 80523D52
	v_mul_lo_u32 v6, v5, s82                                   // 00000000C38C: D2850006 0000A505
	v_readlane_b32 s82, v3, 5                                  // 00000000C394: D2890052 00010B03
	s_lshr_b32 s61, s82, 24                                    // 00000000C39C: 8F3D9852
	s_and_b32 s82, s82, 0xffffff                               // 00000000C3A0: 8652FF52 00FFFFFF
	s_mul_i32 s82, s82, s71                                    // 00000000C3A8: 92524752
	s_mul_i32 s61, s60, s61                                    // 00000000C3AC: 923D3D3C
	s_add_u32 s82, s82, s61                                    // 00000000C3B0: 80523D52
	v_mul_lo_u32 v7, v4, s82                                   // 00000000C3B4: D2850007 0000A504
	v_add_u32_e32 v72, v6, v7                                  // 00000000C3BC: 68900F06
	v_readlane_b32 s82, v3, 6                                  // 00000000C3C0: D2890052 00010D03
	s_lshr_b32 s61, s82, 24                                    // 00000000C3C8: 8F3D9852
	s_and_b32 s82, s82, 0xffffff                               // 00000000C3CC: 8652FF52 00FFFFFF
	s_mul_i32 s82, s82, s71                                    // 00000000C3D4: 92524752
	s_mul_i32 s61, s60, s61                                    // 00000000C3D8: 923D3D3C
	s_add_u32 s82, s82, s61                                    // 00000000C3DC: 80523D52
	v_mul_lo_u32 v6, v5, s82                                   // 00000000C3E0: D2850006 0000A505
	v_readlane_b32 s82, v3, 7                                  // 00000000C3E8: D2890052 00010F03
	s_lshr_b32 s61, s82, 24                                    // 00000000C3F0: 8F3D9852
	s_and_b32 s82, s82, 0xffffff                               // 00000000C3F4: 8652FF52 00FFFFFF
	s_mul_i32 s82, s82, s71                                    // 00000000C3FC: 92524752
	s_mul_i32 s61, s60, s61                                    // 00000000C400: 923D3D3C
	s_add_u32 s82, s82, s61                                    // 00000000C404: 80523D52
	v_mul_lo_u32 v7, v4, s82                                   // 00000000C408: D2850007 0000A504
	v_add_u32_e32 v73, v6, v7                                  // 00000000C410: 68920F06
	v_readlane_b32 s82, v3, 8                                  // 00000000C414: D2890052 00011103
	s_lshr_b32 s61, s82, 24                                    // 00000000C41C: 8F3D9852
	s_and_b32 s82, s82, 0xffffff                               // 00000000C420: 8652FF52 00FFFFFF
	s_mul_i32 s82, s82, s71                                    // 00000000C428: 92524752
	s_mul_i32 s61, s60, s61                                    // 00000000C42C: 923D3D3C
	s_add_u32 s82, s82, s61                                    // 00000000C430: 80523D52
	v_mul_lo_u32 v6, v5, s82                                   // 00000000C434: D2850006 0000A505
	v_readlane_b32 s82, v3, 9                                  // 00000000C43C: D2890052 00011303
	s_lshr_b32 s61, s82, 24                                    // 00000000C444: 8F3D9852
	s_and_b32 s82, s82, 0xffffff                               // 00000000C448: 8652FF52 00FFFFFF
	s_mul_i32 s82, s82, s71                                    // 00000000C450: 92524752
	s_mul_i32 s61, s60, s61                                    // 00000000C454: 923D3D3C
	s_add_u32 s82, s82, s61                                    // 00000000C458: 80523D52
	v_mul_lo_u32 v7, v4, s82                                   // 00000000C45C: D2850007 0000A504
	v_add_u32_e32 v74, v6, v7                                  // 00000000C464: 68940F06
	v_readlane_b32 s82, v3, 10                                 // 00000000C468: D2890052 00011503
	s_lshr_b32 s61, s82, 24                                    // 00000000C470: 8F3D9852
	s_and_b32 s82, s82, 0xffffff                               // 00000000C474: 8652FF52 00FFFFFF
	s_mul_i32 s82, s82, s71                                    // 00000000C47C: 92524752
	s_mul_i32 s61, s60, s61                                    // 00000000C480: 923D3D3C
	s_add_u32 s82, s82, s61                                    // 00000000C484: 80523D52
	v_mul_lo_u32 v6, v5, s82                                   // 00000000C488: D2850006 0000A505
	v_readlane_b32 s82, v3, 11                                 // 00000000C490: D2890052 00011703
	s_lshr_b32 s61, s82, 24                                    // 00000000C498: 8F3D9852
	s_and_b32 s82, s82, 0xffffff                               // 00000000C49C: 8652FF52 00FFFFFF
	s_mul_i32 s82, s82, s71                                    // 00000000C4A4: 92524752
	s_mul_i32 s61, s60, s61                                    // 00000000C4A8: 923D3D3C
	s_add_u32 s82, s82, s61                                    // 00000000C4AC: 80523D52
	v_mul_lo_u32 v7, v4, s82                                   // 00000000C4B0: D2850007 0000A504
	v_add_u32_e32 v75, v6, v7                                  // 00000000C4B8: 68960F06
	v_readlane_b32 s82, v3, 12                                 // 00000000C4BC: D2890052 00011903
	s_lshr_b32 s61, s82, 24                                    // 00000000C4C4: 8F3D9852
	s_and_b32 s82, s82, 0xffffff                               // 00000000C4C8: 8652FF52 00FFFFFF
	s_mul_i32 s82, s82, s71                                    // 00000000C4D0: 92524752
	s_mul_i32 s61, s60, s61                                    // 00000000C4D4: 923D3D3C
	s_add_u32 s82, s82, s61                                    // 00000000C4D8: 80523D52
	v_mul_lo_u32 v6, v5, s82                                   // 00000000C4DC: D2850006 0000A505
	v_readlane_b32 s82, v3, 13                                 // 00000000C4E4: D2890052 00011B03
	s_lshr_b32 s61, s82, 24                                    // 00000000C4EC: 8F3D9852
	s_and_b32 s82, s82, 0xffffff                               // 00000000C4F0: 8652FF52 00FFFFFF
	s_mul_i32 s82, s82, s71                                    // 00000000C4F8: 92524752
	s_mul_i32 s61, s60, s61                                    // 00000000C4FC: 923D3D3C
	s_add_u32 s82, s82, s61                                    // 00000000C500: 80523D52
	v_mul_lo_u32 v7, v4, s82                                   // 00000000C504: D2850007 0000A504
	v_add_u32_e32 v76, v6, v7                                  // 00000000C50C: 68980F06
	v_readlane_b32 s82, v3, 14                                 // 00000000C510: D2890052 00011D03
	s_lshr_b32 s61, s82, 24                                    // 00000000C518: 8F3D9852
	s_and_b32 s82, s82, 0xffffff                               // 00000000C51C: 8652FF52 00FFFFFF
	s_mul_i32 s82, s82, s71                                    // 00000000C524: 92524752
	s_mul_i32 s61, s60, s61                                    // 00000000C528: 923D3D3C
	s_add_u32 s82, s82, s61                                    // 00000000C52C: 80523D52
	v_mul_lo_u32 v6, v5, s82                                   // 00000000C530: D2850006 0000A505
	v_readlane_b32 s82, v3, 15                                 // 00000000C538: D2890052 00011F03
	s_lshr_b32 s61, s82, 24                                    // 00000000C540: 8F3D9852
	s_and_b32 s82, s82, 0xffffff                               // 00000000C544: 8652FF52 00FFFFFF
	s_mul_i32 s82, s82, s71                                    // 00000000C54C: 92524752
	s_mul_i32 s61, s60, s61                                    // 00000000C550: 923D3D3C
	s_add_u32 s82, s82, s61                                    // 00000000C554: 80523D52
	v_mul_lo_u32 v7, v4, s82                                   // 00000000C558: D2850007 0000A504
	v_add_u32_e32 v77, v6, v7                                  // 00000000C560: 689A0F06
	v_readlane_b32 s82, v3, 16                                 // 00000000C564: D2890052 00012103
	s_lshr_b32 s61, s82, 24                                    // 00000000C56C: 8F3D9852
	s_and_b32 s82, s82, 0xffffff                               // 00000000C570: 8652FF52 00FFFFFF
	s_mul_i32 s82, s82, s71                                    // 00000000C578: 92524752
	s_mul_i32 s61, s60, s61                                    // 00000000C57C: 923D3D3C
	s_add_u32 s82, s82, s61                                    // 00000000C580: 80523D52
	v_mul_lo_u32 v6, v5, s82                                   // 00000000C584: D2850006 0000A505
	v_readlane_b32 s82, v3, 17                                 // 00000000C58C: D2890052 00012303
	s_lshr_b32 s61, s82, 24                                    // 00000000C594: 8F3D9852
	s_and_b32 s82, s82, 0xffffff                               // 00000000C598: 8652FF52 00FFFFFF
	s_mul_i32 s82, s82, s71                                    // 00000000C5A0: 92524752
	s_mul_i32 s61, s60, s61                                    // 00000000C5A4: 923D3D3C
	s_add_u32 s82, s82, s61                                    // 00000000C5A8: 80523D52
	v_mul_lo_u32 v7, v4, s82                                   // 00000000C5AC: D2850007 0000A504
	v_add_u32_e32 v78, v6, v7                                  // 00000000C5B4: 689C0F06
	v_readlane_b32 s82, v3, 18                                 // 00000000C5B8: D2890052 00012503
	s_lshr_b32 s61, s82, 24                                    // 00000000C5C0: 8F3D9852
	s_and_b32 s82, s82, 0xffffff                               // 00000000C5C4: 8652FF52 00FFFFFF
	s_mul_i32 s82, s82, s71                                    // 00000000C5CC: 92524752
	s_mul_i32 s61, s60, s61                                    // 00000000C5D0: 923D3D3C
	s_add_u32 s82, s82, s61                                    // 00000000C5D4: 80523D52
	v_mul_lo_u32 v6, v5, s82                                   // 00000000C5D8: D2850006 0000A505
	v_readlane_b32 s82, v3, 19                                 // 00000000C5E0: D2890052 00012703
	s_lshr_b32 s61, s82, 24                                    // 00000000C5E8: 8F3D9852
	s_and_b32 s82, s82, 0xffffff                               // 00000000C5EC: 8652FF52 00FFFFFF
	s_mul_i32 s82, s82, s71                                    // 00000000C5F4: 92524752
	s_mul_i32 s61, s60, s61                                    // 00000000C5F8: 923D3D3C
	s_add_u32 s82, s82, s61                                    // 00000000C5FC: 80523D52
	v_mul_lo_u32 v7, v4, s82                                   // 00000000C600: D2850007 0000A504
	v_add_u32_e32 v79, v6, v7                                  // 00000000C608: 689E0F06
	v_readlane_b32 s82, v3, 20                                 // 00000000C60C: D2890052 00012903
	s_lshr_b32 s61, s82, 24                                    // 00000000C614: 8F3D9852
	s_and_b32 s82, s82, 0xffffff                               // 00000000C618: 8652FF52 00FFFFFF
	s_mul_i32 s82, s82, s71                                    // 00000000C620: 92524752
	s_mul_i32 s61, s60, s61                                    // 00000000C624: 923D3D3C
	s_add_u32 s82, s82, s61                                    // 00000000C628: 80523D52
	v_mul_lo_u32 v6, v5, s82                                   // 00000000C62C: D2850006 0000A505
	v_readlane_b32 s82, v3, 21                                 // 00000000C634: D2890052 00012B03
	s_lshr_b32 s61, s82, 24                                    // 00000000C63C: 8F3D9852
	s_and_b32 s82, s82, 0xffffff                               // 00000000C640: 8652FF52 00FFFFFF
	s_mul_i32 s82, s82, s71                                    // 00000000C648: 92524752
	s_mul_i32 s61, s60, s61                                    // 00000000C64C: 923D3D3C
	s_add_u32 s82, s82, s61                                    // 00000000C650: 80523D52
	v_mul_lo_u32 v7, v4, s82                                   // 00000000C654: D2850007 0000A504
	v_add_u32_e32 v80, v6, v7                                  // 00000000C65C: 68A00F06
	v_readlane_b32 s82, v3, 22                                 // 00000000C660: D2890052 00012D03
	s_lshr_b32 s61, s82, 24                                    // 00000000C668: 8F3D9852
	s_and_b32 s82, s82, 0xffffff                               // 00000000C66C: 8652FF52 00FFFFFF
	s_mul_i32 s82, s82, s71                                    // 00000000C674: 92524752
	s_mul_i32 s61, s60, s61                                    // 00000000C678: 923D3D3C
	s_add_u32 s82, s82, s61                                    // 00000000C67C: 80523D52
	v_mul_lo_u32 v6, v5, s82                                   // 00000000C680: D2850006 0000A505
	v_readlane_b32 s82, v3, 23                                 // 00000000C688: D2890052 00012F03
	s_lshr_b32 s61, s82, 24                                    // 00000000C690: 8F3D9852
	s_and_b32 s82, s82, 0xffffff                               // 00000000C694: 8652FF52 00FFFFFF
	s_mul_i32 s82, s82, s71                                    // 00000000C69C: 92524752
	s_mul_i32 s61, s60, s61                                    // 00000000C6A0: 923D3D3C
	s_add_u32 s82, s82, s61                                    // 00000000C6A4: 80523D52
	v_mul_lo_u32 v7, v4, s82                                   // 00000000C6A8: D2850007 0000A504
	v_add_u32_e32 v81, v6, v7                                  // 00000000C6B0: 68A20F06
	v_readlane_b32 s82, v3, 24                                 // 00000000C6B4: D2890052 00013103
	s_lshr_b32 s61, s82, 24                                    // 00000000C6BC: 8F3D9852
	s_and_b32 s82, s82, 0xffffff                               // 00000000C6C0: 8652FF52 00FFFFFF
	s_mul_i32 s82, s82, s71                                    // 00000000C6C8: 92524752
	s_mul_i32 s61, s60, s61                                    // 00000000C6CC: 923D3D3C
	s_add_u32 s82, s82, s61                                    // 00000000C6D0: 80523D52
	v_mul_lo_u32 v6, v5, s82                                   // 00000000C6D4: D2850006 0000A505
	v_readlane_b32 s82, v3, 25                                 // 00000000C6DC: D2890052 00013303
	s_lshr_b32 s61, s82, 24                                    // 00000000C6E4: 8F3D9852
	s_and_b32 s82, s82, 0xffffff                               // 00000000C6E8: 8652FF52 00FFFFFF
	s_mul_i32 s82, s82, s71                                    // 00000000C6F0: 92524752
	s_mul_i32 s61, s60, s61                                    // 00000000C6F4: 923D3D3C
	s_add_u32 s82, s82, s61                                    // 00000000C6F8: 80523D52
	v_mul_lo_u32 v7, v4, s82                                   // 00000000C6FC: D2850007 0000A504
	v_add_u32_e32 v82, v6, v7                                  // 00000000C704: 68A40F06
	v_readlane_b32 s82, v3, 26                                 // 00000000C708: D2890052 00013503
	s_lshr_b32 s61, s82, 24                                    // 00000000C710: 8F3D9852
	s_and_b32 s82, s82, 0xffffff                               // 00000000C714: 8652FF52 00FFFFFF
	s_mul_i32 s82, s82, s71                                    // 00000000C71C: 92524752
	s_mul_i32 s61, s60, s61                                    // 00000000C720: 923D3D3C
	s_add_u32 s82, s82, s61                                    // 00000000C724: 80523D52
	v_mul_lo_u32 v6, v5, s82                                   // 00000000C728: D2850006 0000A505
	v_readlane_b32 s82, v3, 27                                 // 00000000C730: D2890052 00013703
	s_lshr_b32 s61, s82, 24                                    // 00000000C738: 8F3D9852
	s_and_b32 s82, s82, 0xffffff                               // 00000000C73C: 8652FF52 00FFFFFF
	s_mul_i32 s82, s82, s71                                    // 00000000C744: 92524752
	s_mul_i32 s61, s60, s61                                    // 00000000C748: 923D3D3C
	s_add_u32 s82, s82, s61                                    // 00000000C74C: 80523D52
	v_mul_lo_u32 v7, v4, s82                                   // 00000000C750: D2850007 0000A504
	v_add_u32_e32 v83, v6, v7                                  // 00000000C758: 68A60F06
	v_readlane_b32 s82, v3, 28                                 // 00000000C75C: D2890052 00013903
	s_lshr_b32 s61, s82, 24                                    // 00000000C764: 8F3D9852
	s_and_b32 s82, s82, 0xffffff                               // 00000000C768: 8652FF52 00FFFFFF
	s_mul_i32 s82, s82, s71                                    // 00000000C770: 92524752
	s_mul_i32 s61, s60, s61                                    // 00000000C774: 923D3D3C
	s_add_u32 s82, s82, s61                                    // 00000000C778: 80523D52
	v_mul_lo_u32 v6, v5, s82                                   // 00000000C77C: D2850006 0000A505
	v_readlane_b32 s82, v3, 29                                 // 00000000C784: D2890052 00013B03
	s_lshr_b32 s61, s82, 24                                    // 00000000C78C: 8F3D9852
	s_and_b32 s82, s82, 0xffffff                               // 00000000C790: 8652FF52 00FFFFFF
	s_mul_i32 s82, s82, s71                                    // 00000000C798: 92524752
	s_mul_i32 s61, s60, s61                                    // 00000000C79C: 923D3D3C
	s_add_u32 s82, s82, s61                                    // 00000000C7A0: 80523D52
	v_mul_lo_u32 v7, v4, s82                                   // 00000000C7A4: D2850007 0000A504
	v_add_u32_e32 v84, v6, v7                                  // 00000000C7AC: 68A80F06
	v_readlane_b32 s82, v3, 30                                 // 00000000C7B0: D2890052 00013D03
	s_lshr_b32 s61, s82, 24                                    // 00000000C7B8: 8F3D9852
	s_and_b32 s82, s82, 0xffffff                               // 00000000C7BC: 8652FF52 00FFFFFF
	s_mul_i32 s82, s82, s71                                    // 00000000C7C4: 92524752
	s_mul_i32 s61, s60, s61                                    // 00000000C7C8: 923D3D3C
	s_add_u32 s82, s82, s61                                    // 00000000C7CC: 80523D52
	v_mul_lo_u32 v6, v5, s82                                   // 00000000C7D0: D2850006 0000A505
	v_readlane_b32 s82, v3, 31                                 // 00000000C7D8: D2890052 00013F03
	s_lshr_b32 s61, s82, 24                                    // 00000000C7E0: 8F3D9852
	s_and_b32 s82, s82, 0xffffff                               // 00000000C7E4: 8652FF52 00FFFFFF
	s_mul_i32 s82, s82, s71                                    // 00000000C7EC: 92524752
	s_mul_i32 s61, s60, s61                                    // 00000000C7F0: 923D3D3C
	s_add_u32 s82, s82, s61                                    // 00000000C7F4: 80523D52
	v_mul_lo_u32 v7, v4, s82                                   // 00000000C7F8: D2850007 0000A504
	v_add_u32_e32 v85, v6, v7                                  // 00000000C800: 68AA0F06
	v_readlane_b32 s82, v3, 32                                 // 00000000C804: D2890052 00014103
	s_lshr_b32 s61, s82, 24                                    // 00000000C80C: 8F3D9852
	s_and_b32 s82, s82, 0xffffff                               // 00000000C810: 8652FF52 00FFFFFF
	s_mul_i32 s82, s82, s71                                    // 00000000C818: 92524752
	s_mul_i32 s61, s60, s61                                    // 00000000C81C: 923D3D3C
	s_add_u32 s82, s82, s61                                    // 00000000C820: 80523D52
	v_mul_lo_u32 v6, v5, s82                                   // 00000000C824: D2850006 0000A505
	v_readlane_b32 s82, v3, 33                                 // 00000000C82C: D2890052 00014303
	s_lshr_b32 s61, s82, 24                                    // 00000000C834: 8F3D9852
	s_and_b32 s82, s82, 0xffffff                               // 00000000C838: 8652FF52 00FFFFFF
	s_mul_i32 s82, s82, s71                                    // 00000000C840: 92524752
	s_mul_i32 s61, s60, s61                                    // 00000000C844: 923D3D3C
	s_add_u32 s82, s82, s61                                    // 00000000C848: 80523D52
	v_mul_lo_u32 v7, v4, s82                                   // 00000000C84C: D2850007 0000A504
	v_add_u32_e32 v86, v6, v7                                  // 00000000C854: 68AC0F06
	v_readlane_b32 s82, v3, 34                                 // 00000000C858: D2890052 00014503
	s_lshr_b32 s61, s82, 24                                    // 00000000C860: 8F3D9852
	s_and_b32 s82, s82, 0xffffff                               // 00000000C864: 8652FF52 00FFFFFF
	s_mul_i32 s82, s82, s71                                    // 00000000C86C: 92524752
	s_mul_i32 s61, s60, s61                                    // 00000000C870: 923D3D3C
	s_add_u32 s82, s82, s61                                    // 00000000C874: 80523D52
	v_mul_lo_u32 v6, v5, s82                                   // 00000000C878: D2850006 0000A505
	v_readlane_b32 s82, v3, 35                                 // 00000000C880: D2890052 00014703
	s_lshr_b32 s61, s82, 24                                    // 00000000C888: 8F3D9852
	s_and_b32 s82, s82, 0xffffff                               // 00000000C88C: 8652FF52 00FFFFFF
	s_mul_i32 s82, s82, s71                                    // 00000000C894: 92524752
	s_mul_i32 s61, s60, s61                                    // 00000000C898: 923D3D3C
	s_add_u32 s82, s82, s61                                    // 00000000C89C: 80523D52
	v_mul_lo_u32 v7, v4, s82                                   // 00000000C8A0: D2850007 0000A504
	v_add_u32_e32 v87, v6, v7                                  // 00000000C8A8: 68AE0F06
	v_readlane_b32 s82, v3, 36                                 // 00000000C8AC: D2890052 00014903
	s_lshr_b32 s61, s82, 24                                    // 00000000C8B4: 8F3D9852
	s_and_b32 s82, s82, 0xffffff                               // 00000000C8B8: 8652FF52 00FFFFFF
	s_mul_i32 s82, s82, s71                                    // 00000000C8C0: 92524752
	s_mul_i32 s61, s60, s61                                    // 00000000C8C4: 923D3D3C
	s_add_u32 s82, s82, s61                                    // 00000000C8C8: 80523D52
	v_mul_lo_u32 v6, v5, s82                                   // 00000000C8CC: D2850006 0000A505
	v_readlane_b32 s82, v3, 37                                 // 00000000C8D4: D2890052 00014B03
	s_lshr_b32 s61, s82, 24                                    // 00000000C8DC: 8F3D9852
	s_and_b32 s82, s82, 0xffffff                               // 00000000C8E0: 8652FF52 00FFFFFF
	s_mul_i32 s82, s82, s71                                    // 00000000C8E8: 92524752
	s_mul_i32 s61, s60, s61                                    // 00000000C8EC: 923D3D3C
	s_add_u32 s82, s82, s61                                    // 00000000C8F0: 80523D52
	v_mul_lo_u32 v7, v4, s82                                   // 00000000C8F4: D2850007 0000A504
	v_add_u32_e32 v88, v6, v7                                  // 00000000C8FC: 68B00F06
	v_readlane_b32 s82, v3, 38                                 // 00000000C900: D2890052 00014D03
	s_lshr_b32 s61, s82, 24                                    // 00000000C908: 8F3D9852
	s_and_b32 s82, s82, 0xffffff                               // 00000000C90C: 8652FF52 00FFFFFF
	s_mul_i32 s82, s82, s71                                    // 00000000C914: 92524752
	s_mul_i32 s61, s60, s61                                    // 00000000C918: 923D3D3C
	s_add_u32 s82, s82, s61                                    // 00000000C91C: 80523D52
	v_mul_lo_u32 v6, v5, s82                                   // 00000000C920: D2850006 0000A505
	v_readlane_b32 s82, v3, 39                                 // 00000000C928: D2890052 00014F03
	s_lshr_b32 s61, s82, 24                                    // 00000000C930: 8F3D9852
	s_and_b32 s82, s82, 0xffffff                               // 00000000C934: 8652FF52 00FFFFFF
	s_mul_i32 s82, s82, s71                                    // 00000000C93C: 92524752
	s_mul_i32 s61, s60, s61                                    // 00000000C940: 923D3D3C
	s_add_u32 s82, s82, s61                                    // 00000000C944: 80523D52
	v_mul_lo_u32 v7, v4, s82                                   // 00000000C948: D2850007 0000A504
	v_add_u32_e32 v89, v6, v7                                  // 00000000C950: 68B20F06
	v_and_b32_e32 v4, 31, v0                                   // 00000000C954: 2608009F
	v_lshrrev_b32_e32 v4, 1, v4                                // 00000000C958: 20080881
	s_cmp_eq_u32 s88, 0                                        // 00000000C95C: BF068058
	s_cselect_b32 s61, 2, 4                                    // 00000000C960: 853D8482
	v_mul_lo_u32 v4, v4, s61                                   // 00000000C964: D2850004 00007B04
	v_and_b32_e64 v5, v0, 1                                    // 00000000C96C: D1130005 00010300
	v_add_u32_e32 v4, v4, v5                                   // 00000000C974: 68080B04
	v_lshlrev_b32_e32 v4, 2, v4                                // 00000000C978: 24080882
	v_add_u32_e32 v70, v70, v4                                 // 00000000C97C: 688C0946
	v_add_u32_e32 v71, v71, v4                                 // 00000000C980: 688E0947
	v_add_u32_e32 v72, v72, v4                                 // 00000000C984: 68900948
	v_add_u32_e32 v73, v73, v4                                 // 00000000C988: 68920949
	v_add_u32_e32 v74, v74, v4                                 // 00000000C98C: 6894094A
	v_add_u32_e32 v75, v75, v4                                 // 00000000C990: 6896094B
	v_add_u32_e32 v76, v76, v4                                 // 00000000C994: 6898094C
	v_add_u32_e32 v77, v77, v4                                 // 00000000C998: 689A094D
	v_add_u32_e32 v78, v78, v4                                 // 00000000C99C: 689C094E
	v_add_u32_e32 v79, v79, v4                                 // 00000000C9A0: 689E094F
	v_add_u32_e32 v80, v80, v4                                 // 00000000C9A4: 68A00950
	v_add_u32_e32 v81, v81, v4                                 // 00000000C9A8: 68A20951
	v_add_u32_e32 v82, v82, v4                                 // 00000000C9AC: 68A40952
	v_add_u32_e32 v83, v83, v4                                 // 00000000C9B0: 68A60953
	v_add_u32_e32 v84, v84, v4                                 // 00000000C9B4: 68A80954
	v_add_u32_e32 v85, v85, v4                                 // 00000000C9B8: 68AA0955
	v_add_u32_e32 v86, v86, v4                                 // 00000000C9BC: 68AC0956
	v_add_u32_e32 v87, v87, v4                                 // 00000000C9C0: 68AE0957
	v_add_u32_e32 v88, v88, v4                                 // 00000000C9C4: 68B00958
	v_add_u32_e32 v89, v89, v4                                 // 00000000C9C8: 68B20959
	s_waitcnt lgkmcnt(0)                                       // 00000000C9CC: BF8CC07F
	s_barrier                                                  // 00000000C9D0: BF8A0000
	ds_read_b32 v92, v21                                       // 00000000C9D4: D86C0000 5C000015
	ds_read_b32 v93, v21 offset:64                             // 00000000C9DC: D86C0040 5D000015
	ds_read_b32 v96, v21 offset:2176                           // 00000000C9E4: D86C0880 60000015
	ds_read_b32 v97, v21 offset:2240                           // 00000000C9EC: D86C08C0 61000015
	ds_read_b32 v100, v21 offset:4352                          // 00000000C9F4: D86C1100 64000015
	ds_read_b32 v101, v21 offset:4416                          // 00000000C9FC: D86C1140 65000015
	ds_read_b32 v104, v21 offset:6528                          // 00000000CA04: D86C1980 68000015
	ds_read_b32 v105, v21 offset:6592                          // 00000000CA0C: D86C19C0 69000015
	ds_read_b32 v108, v21 offset:8704                          // 00000000CA14: D86C2200 6C000015
	ds_read_b32 v109, v21 offset:8768                          // 00000000CA1C: D86C2240 6D000015
	ds_read_b32 v112, v21 offset:10880                         // 00000000CA24: D86C2A80 70000015
	ds_read_b32 v113, v21 offset:10944                         // 00000000CA2C: D86C2AC0 71000015
	ds_read_b32 v116, v21 offset:13056                         // 00000000CA34: D86C3300 74000015
	ds_read_b32 v117, v21 offset:13120                         // 00000000CA3C: D86C3340 75000015
	ds_read_b32 v120, v21 offset:15232                         // 00000000CA44: D86C3B80 78000015
	ds_read_b32 v121, v21 offset:15296                         // 00000000CA4C: D86C3BC0 79000015
	ds_read_b32 v124, v21 offset:17408                         // 00000000CA54: D86C4400 7C000015
	ds_read_b32 v125, v21 offset:17472                         // 00000000CA5C: D86C4440 7D000015
	ds_read_b32 v128, v21 offset:19584                         // 00000000CA64: D86C4C80 80000015
	ds_read_b32 v129, v21 offset:19648                         // 00000000CA6C: D86C4CC0 81000015
	ds_read_b32 v132, v21 offset:21760                         // 00000000CA74: D86C5500 84000015
	ds_read_b32 v133, v21 offset:21824                         // 00000000CA7C: D86C5540 85000015
	ds_read_b32 v136, v21 offset:23936                         // 00000000CA84: D86C5D80 88000015
	ds_read_b32 v137, v21 offset:24000                         // 00000000CA8C: D86C5DC0 89000015
	ds_read_b32 v140, v21 offset:26112                         // 00000000CA94: D86C6600 8C000015
	ds_read_b32 v141, v21 offset:26176                         // 00000000CA9C: D86C6640 8D000015
	ds_read_b32 v144, v21 offset:28288                         // 00000000CAA4: D86C6E80 90000015
	ds_read_b32 v145, v21 offset:28352                         // 00000000CAAC: D86C6EC0 91000015
	ds_read_b32 v148, v21 offset:30464                         // 00000000CAB4: D86C7700 94000015
	ds_read_b32 v149, v21 offset:30528                         // 00000000CABC: D86C7740 95000015
	ds_read_b32 v152, v21 offset:32640                         // 00000000CAC4: D86C7F80 98000015
	ds_read_b32 v153, v21 offset:32704                         // 00000000CACC: D86C7FC0 99000015
	ds_read_b32 v156, v21 offset:34816                         // 00000000CAD4: D86C8800 9C000015
	ds_read_b32 v157, v21 offset:34880                         // 00000000CADC: D86C8840 9D000015
	ds_read_b32 v160, v21 offset:36992                         // 00000000CAE4: D86C9080 A0000015
	ds_read_b32 v161, v21 offset:37056                         // 00000000CAEC: D86C90C0 A1000015
	ds_read_b32 v164, v21 offset:39168                         // 00000000CAF4: D86C9900 A4000015
	ds_read_b32 v165, v21 offset:39232                         // 00000000CAFC: D86C9940 A5000015
	ds_read_b32 v168, v21 offset:41344                         // 00000000CB04: D86CA180 A8000015
	ds_read_b32 v169, v21 offset:41408                         // 00000000CB0C: D86CA1C0 A9000015
	s_waitcnt lgkmcnt(0)                                       // 00000000CB14: BF8CC07F
	s_mov_b32 s36, -1                                          // 00000000CB18: BEA400C1
	s_mov_b32 s37, -1                                          // 00000000CB1C: BEA500C1
	v_mov_b32_e32 v7, 0                                        // 00000000CB20: 7E0E0280
	s_mov_b64 exec, s[36:37]                                   // 00000000CB24: BEFE0124
	v_mov_b32_e32 v6, v70                                      // 00000000CB28: 7E0C0346
	s_mov_b64 s[60:61], 0                                      // 00000000CB2C: BEBC0180
	v_readlane_b32 s82, v3, 0                                  // 00000000CB30: D2890052 00010103
	s_and_b32 s82, s82, 0xffffff                               // 00000000CB38: 8652FF52 00FFFFFF
	s_cmp_lt_u32 s82, s66                                      // 00000000CB40: BF0A4252
	s_cselect_b32 s20, s36, s60                                // 00000000CB44: 85143C24
	v_readlane_b32 s82, v3, 1                                  // 00000000CB48: D2890052 00010303
	s_and_b32 s82, s82, 0xffffff                               // 00000000CB50: 8652FF52 00FFFFFF
	s_cmp_lt_u32 s82, s66                                      // 00000000CB58: BF0A4252
	s_cselect_b32 s21, s36, s60                                // 00000000CB5C: 85153C24
	s_mov_b64 exec, s[20:21]                                   // 00000000CB60: BEFE0114
	global_atomic_add_f32 v6, v92, s[8:9]                      // 00000000CB64: DD348000 00085C06
	global_atomic_add_f32 v6, v96, s[8:9] offset:256           // 00000000CB6C: DD348100 00086006
	s_mov_b64 exec, s[36:37]                                   // 00000000CB74: BEFE0124
	v_mov_b32_e32 v6, v71                                      // 00000000CB78: 7E0C0347
	s_mov_b64 s[60:61], 0                                      // 00000000CB7C: BEBC0180
	v_readlane_b32 s82, v3, 2                                  // 00000000CB80: D2890052 00010503
	s_and_b32 s82, s82, 0xffffff                               // 00000000CB88: 8652FF52 00FFFFFF
	s_cmp_lt_u32 s82, s66                                      // 00000000CB90: BF0A4252
	s_cselect_b32 s20, s36, s60                                // 00000000CB94: 85143C24
	v_readlane_b32 s82, v3, 3                                  // 00000000CB98: D2890052 00010703
	s_and_b32 s82, s82, 0xffffff                               // 00000000CBA0: 8652FF52 00FFFFFF
	s_cmp_lt_u32 s82, s66                                      // 00000000CBA8: BF0A4252
	s_cselect_b32 s21, s36, s60                                // 00000000CBAC: 85153C24
	s_mov_b64 exec, s[20:21]                                   // 00000000CBB0: BEFE0114
	global_atomic_add_f32 v6, v93, s[8:9]                      // 00000000CBB4: DD348000 00085D06
	global_atomic_add_f32 v6, v97, s[8:9] offset:256           // 00000000CBBC: DD348100 00086106
	s_mov_b64 exec, s[36:37]                                   // 00000000CBC4: BEFE0124
	v_mov_b32_e32 v6, v72                                      // 00000000CBC8: 7E0C0348
	s_mov_b64 s[60:61], 0                                      // 00000000CBCC: BEBC0180
	v_readlane_b32 s82, v3, 4                                  // 00000000CBD0: D2890052 00010903
	s_and_b32 s82, s82, 0xffffff                               // 00000000CBD8: 8652FF52 00FFFFFF
	s_cmp_lt_u32 s82, s66                                      // 00000000CBE0: BF0A4252
	s_cselect_b32 s20, s36, s60                                // 00000000CBE4: 85143C24
	v_readlane_b32 s82, v3, 5                                  // 00000000CBE8: D2890052 00010B03
	s_and_b32 s82, s82, 0xffffff                               // 00000000CBF0: 8652FF52 00FFFFFF
	s_cmp_lt_u32 s82, s66                                      // 00000000CBF8: BF0A4252
	s_cselect_b32 s21, s36, s60                                // 00000000CBFC: 85153C24
	s_mov_b64 exec, s[20:21]                                   // 00000000CC00: BEFE0114
	global_atomic_add_f32 v6, v100, s[8:9]                     // 00000000CC04: DD348000 00086406
	global_atomic_add_f32 v6, v104, s[8:9] offset:256          // 00000000CC0C: DD348100 00086806
	s_mov_b64 exec, s[36:37]                                   // 00000000CC14: BEFE0124
	v_mov_b32_e32 v6, v73                                      // 00000000CC18: 7E0C0349
	s_mov_b64 s[60:61], 0                                      // 00000000CC1C: BEBC0180
	v_readlane_b32 s82, v3, 6                                  // 00000000CC20: D2890052 00010D03
	s_and_b32 s82, s82, 0xffffff                               // 00000000CC28: 8652FF52 00FFFFFF
	s_cmp_lt_u32 s82, s66                                      // 00000000CC30: BF0A4252
	s_cselect_b32 s20, s36, s60                                // 00000000CC34: 85143C24
	v_readlane_b32 s82, v3, 7                                  // 00000000CC38: D2890052 00010F03
	s_and_b32 s82, s82, 0xffffff                               // 00000000CC40: 8652FF52 00FFFFFF
	s_cmp_lt_u32 s82, s66                                      // 00000000CC48: BF0A4252
	s_cselect_b32 s21, s36, s60                                // 00000000CC4C: 85153C24
	s_mov_b64 exec, s[20:21]                                   // 00000000CC50: BEFE0114
	global_atomic_add_f32 v6, v101, s[8:9]                     // 00000000CC54: DD348000 00086506
	global_atomic_add_f32 v6, v105, s[8:9] offset:256          // 00000000CC5C: DD348100 00086906
	s_mov_b64 exec, s[36:37]                                   // 00000000CC64: BEFE0124
	v_mov_b32_e32 v6, v74                                      // 00000000CC68: 7E0C034A
	s_mov_b64 s[60:61], 0                                      // 00000000CC6C: BEBC0180
	v_readlane_b32 s82, v3, 8                                  // 00000000CC70: D2890052 00011103
	s_and_b32 s82, s82, 0xffffff                               // 00000000CC78: 8652FF52 00FFFFFF
	s_cmp_lt_u32 s82, s66                                      // 00000000CC80: BF0A4252
	s_cselect_b32 s20, s36, s60                                // 00000000CC84: 85143C24
	v_readlane_b32 s82, v3, 9                                  // 00000000CC88: D2890052 00011303
	s_and_b32 s82, s82, 0xffffff                               // 00000000CC90: 8652FF52 00FFFFFF
	s_cmp_lt_u32 s82, s66                                      // 00000000CC98: BF0A4252
	s_cselect_b32 s21, s36, s60                                // 00000000CC9C: 85153C24
	s_mov_b64 exec, s[20:21]                                   // 00000000CCA0: BEFE0114
	global_atomic_add_f32 v6, v108, s[8:9]                     // 00000000CCA4: DD348000 00086C06
	global_atomic_add_f32 v6, v112, s[8:9] offset:256          // 00000000CCAC: DD348100 00087006
	s_mov_b64 exec, s[36:37]                                   // 00000000CCB4: BEFE0124
	v_mov_b32_e32 v6, v75                                      // 00000000CCB8: 7E0C034B
	s_mov_b64 s[60:61], 0                                      // 00000000CCBC: BEBC0180
	v_readlane_b32 s82, v3, 10                                 // 00000000CCC0: D2890052 00011503
	s_and_b32 s82, s82, 0xffffff                               // 00000000CCC8: 8652FF52 00FFFFFF
	s_cmp_lt_u32 s82, s66                                      // 00000000CCD0: BF0A4252
	s_cselect_b32 s20, s36, s60                                // 00000000CCD4: 85143C24
	v_readlane_b32 s82, v3, 11                                 // 00000000CCD8: D2890052 00011703
	s_and_b32 s82, s82, 0xffffff                               // 00000000CCE0: 8652FF52 00FFFFFF
	s_cmp_lt_u32 s82, s66                                      // 00000000CCE8: BF0A4252
	s_cselect_b32 s21, s36, s60                                // 00000000CCEC: 85153C24
	s_mov_b64 exec, s[20:21]                                   // 00000000CCF0: BEFE0114
	global_atomic_add_f32 v6, v109, s[8:9]                     // 00000000CCF4: DD348000 00086D06
	global_atomic_add_f32 v6, v113, s[8:9] offset:256          // 00000000CCFC: DD348100 00087106
	s_mov_b64 exec, s[36:37]                                   // 00000000CD04: BEFE0124
	v_mov_b32_e32 v6, v76                                      // 00000000CD08: 7E0C034C
	s_mov_b64 s[60:61], 0                                      // 00000000CD0C: BEBC0180
	v_readlane_b32 s82, v3, 12                                 // 00000000CD10: D2890052 00011903
	s_and_b32 s82, s82, 0xffffff                               // 00000000CD18: 8652FF52 00FFFFFF
	s_cmp_lt_u32 s82, s66                                      // 00000000CD20: BF0A4252
	s_cselect_b32 s20, s36, s60                                // 00000000CD24: 85143C24
	v_readlane_b32 s82, v3, 13                                 // 00000000CD28: D2890052 00011B03
	s_and_b32 s82, s82, 0xffffff                               // 00000000CD30: 8652FF52 00FFFFFF
	s_cmp_lt_u32 s82, s66                                      // 00000000CD38: BF0A4252
	s_cselect_b32 s21, s36, s60                                // 00000000CD3C: 85153C24
	s_mov_b64 exec, s[20:21]                                   // 00000000CD40: BEFE0114
	global_atomic_add_f32 v6, v116, s[8:9]                     // 00000000CD44: DD348000 00087406
	global_atomic_add_f32 v6, v120, s[8:9] offset:256          // 00000000CD4C: DD348100 00087806
	s_mov_b64 exec, s[36:37]                                   // 00000000CD54: BEFE0124
	v_mov_b32_e32 v6, v77                                      // 00000000CD58: 7E0C034D
	s_mov_b64 s[60:61], 0                                      // 00000000CD5C: BEBC0180
	v_readlane_b32 s82, v3, 14                                 // 00000000CD60: D2890052 00011D03
	s_and_b32 s82, s82, 0xffffff                               // 00000000CD68: 8652FF52 00FFFFFF
	s_cmp_lt_u32 s82, s66                                      // 00000000CD70: BF0A4252
	s_cselect_b32 s20, s36, s60                                // 00000000CD74: 85143C24
	v_readlane_b32 s82, v3, 15                                 // 00000000CD78: D2890052 00011F03
	s_and_b32 s82, s82, 0xffffff                               // 00000000CD80: 8652FF52 00FFFFFF
	s_cmp_lt_u32 s82, s66                                      // 00000000CD88: BF0A4252
	s_cselect_b32 s21, s36, s60                                // 00000000CD8C: 85153C24
	s_mov_b64 exec, s[20:21]                                   // 00000000CD90: BEFE0114
	global_atomic_add_f32 v6, v117, s[8:9]                     // 00000000CD94: DD348000 00087506
	global_atomic_add_f32 v6, v121, s[8:9] offset:256          // 00000000CD9C: DD348100 00087906
	s_mov_b64 exec, s[36:37]                                   // 00000000CDA4: BEFE0124
	v_mov_b32_e32 v6, v78                                      // 00000000CDA8: 7E0C034E
	s_mov_b64 s[60:61], 0                                      // 00000000CDAC: BEBC0180
	v_readlane_b32 s82, v3, 16                                 // 00000000CDB0: D2890052 00012103
	s_and_b32 s82, s82, 0xffffff                               // 00000000CDB8: 8652FF52 00FFFFFF
	s_cmp_lt_u32 s82, s66                                      // 00000000CDC0: BF0A4252
	s_cselect_b32 s20, s36, s60                                // 00000000CDC4: 85143C24
	v_readlane_b32 s82, v3, 17                                 // 00000000CDC8: D2890052 00012303
	s_and_b32 s82, s82, 0xffffff                               // 00000000CDD0: 8652FF52 00FFFFFF
	s_cmp_lt_u32 s82, s66                                      // 00000000CDD8: BF0A4252
	s_cselect_b32 s21, s36, s60                                // 00000000CDDC: 85153C24
	s_mov_b64 exec, s[20:21]                                   // 00000000CDE0: BEFE0114
	global_atomic_add_f32 v6, v124, s[8:9]                     // 00000000CDE4: DD348000 00087C06
	global_atomic_add_f32 v6, v128, s[8:9] offset:256          // 00000000CDEC: DD348100 00088006
	s_mov_b64 exec, s[36:37]                                   // 00000000CDF4: BEFE0124
	v_mov_b32_e32 v6, v79                                      // 00000000CDF8: 7E0C034F
	s_mov_b64 s[60:61], 0                                      // 00000000CDFC: BEBC0180
	v_readlane_b32 s82, v3, 18                                 // 00000000CE00: D2890052 00012503
	s_and_b32 s82, s82, 0xffffff                               // 00000000CE08: 8652FF52 00FFFFFF
	s_cmp_lt_u32 s82, s66                                      // 00000000CE10: BF0A4252
	s_cselect_b32 s20, s36, s60                                // 00000000CE14: 85143C24
	v_readlane_b32 s82, v3, 19                                 // 00000000CE18: D2890052 00012703
	s_and_b32 s82, s82, 0xffffff                               // 00000000CE20: 8652FF52 00FFFFFF
	s_cmp_lt_u32 s82, s66                                      // 00000000CE28: BF0A4252
	s_cselect_b32 s21, s36, s60                                // 00000000CE2C: 85153C24
	s_mov_b64 exec, s[20:21]                                   // 00000000CE30: BEFE0114
	global_atomic_add_f32 v6, v125, s[8:9]                     // 00000000CE34: DD348000 00087D06
	global_atomic_add_f32 v6, v129, s[8:9] offset:256          // 00000000CE3C: DD348100 00088106
	s_mov_b64 exec, s[36:37]                                   // 00000000CE44: BEFE0124
	v_mov_b32_e32 v6, v80                                      // 00000000CE48: 7E0C0350
	s_mov_b64 s[60:61], 0                                      // 00000000CE4C: BEBC0180
	v_readlane_b32 s82, v3, 20                                 // 00000000CE50: D2890052 00012903
	s_and_b32 s82, s82, 0xffffff                               // 00000000CE58: 8652FF52 00FFFFFF
	s_cmp_lt_u32 s82, s66                                      // 00000000CE60: BF0A4252
	s_cselect_b32 s20, s36, s60                                // 00000000CE64: 85143C24
	v_readlane_b32 s82, v3, 21                                 // 00000000CE68: D2890052 00012B03
	s_and_b32 s82, s82, 0xffffff                               // 00000000CE70: 8652FF52 00FFFFFF
	s_cmp_lt_u32 s82, s66                                      // 00000000CE78: BF0A4252
	s_cselect_b32 s21, s36, s60                                // 00000000CE7C: 85153C24
	s_mov_b64 exec, s[20:21]                                   // 00000000CE80: BEFE0114
	global_atomic_add_f32 v6, v132, s[8:9]                     // 00000000CE84: DD348000 00088406
	global_atomic_add_f32 v6, v136, s[8:9] offset:256          // 00000000CE8C: DD348100 00088806
	s_mov_b64 exec, s[36:37]                                   // 00000000CE94: BEFE0124
	v_mov_b32_e32 v6, v81                                      // 00000000CE98: 7E0C0351
	s_mov_b64 s[60:61], 0                                      // 00000000CE9C: BEBC0180
	v_readlane_b32 s82, v3, 22                                 // 00000000CEA0: D2890052 00012D03
	s_and_b32 s82, s82, 0xffffff                               // 00000000CEA8: 8652FF52 00FFFFFF
	s_cmp_lt_u32 s82, s66                                      // 00000000CEB0: BF0A4252
	s_cselect_b32 s20, s36, s60                                // 00000000CEB4: 85143C24
	v_readlane_b32 s82, v3, 23                                 // 00000000CEB8: D2890052 00012F03
	s_and_b32 s82, s82, 0xffffff                               // 00000000CEC0: 8652FF52 00FFFFFF
	s_cmp_lt_u32 s82, s66                                      // 00000000CEC8: BF0A4252
	s_cselect_b32 s21, s36, s60                                // 00000000CECC: 85153C24
	s_mov_b64 exec, s[20:21]                                   // 00000000CED0: BEFE0114
	global_atomic_add_f32 v6, v133, s[8:9]                     // 00000000CED4: DD348000 00088506
	global_atomic_add_f32 v6, v137, s[8:9] offset:256          // 00000000CEDC: DD348100 00088906
	s_mov_b64 exec, s[36:37]                                   // 00000000CEE4: BEFE0124
	v_mov_b32_e32 v6, v82                                      // 00000000CEE8: 7E0C0352
	s_mov_b64 s[60:61], 0                                      // 00000000CEEC: BEBC0180
	v_readlane_b32 s82, v3, 24                                 // 00000000CEF0: D2890052 00013103
	s_and_b32 s82, s82, 0xffffff                               // 00000000CEF8: 8652FF52 00FFFFFF
	s_cmp_lt_u32 s82, s66                                      // 00000000CF00: BF0A4252
	s_cselect_b32 s20, s36, s60                                // 00000000CF04: 85143C24
	v_readlane_b32 s82, v3, 25                                 // 00000000CF08: D2890052 00013303
	s_and_b32 s82, s82, 0xffffff                               // 00000000CF10: 8652FF52 00FFFFFF
	s_cmp_lt_u32 s82, s66                                      // 00000000CF18: BF0A4252
	s_cselect_b32 s21, s36, s60                                // 00000000CF1C: 85153C24
	s_mov_b64 exec, s[20:21]                                   // 00000000CF20: BEFE0114
	global_atomic_add_f32 v6, v140, s[8:9]                     // 00000000CF24: DD348000 00088C06
	global_atomic_add_f32 v6, v144, s[8:9] offset:256          // 00000000CF2C: DD348100 00089006
	s_mov_b64 exec, s[36:37]                                   // 00000000CF34: BEFE0124
	v_mov_b32_e32 v6, v83                                      // 00000000CF38: 7E0C0353
	s_mov_b64 s[60:61], 0                                      // 00000000CF3C: BEBC0180
	v_readlane_b32 s82, v3, 26                                 // 00000000CF40: D2890052 00013503
	s_and_b32 s82, s82, 0xffffff                               // 00000000CF48: 8652FF52 00FFFFFF
	s_cmp_lt_u32 s82, s66                                      // 00000000CF50: BF0A4252
	s_cselect_b32 s20, s36, s60                                // 00000000CF54: 85143C24
	v_readlane_b32 s82, v3, 27                                 // 00000000CF58: D2890052 00013703
	s_and_b32 s82, s82, 0xffffff                               // 00000000CF60: 8652FF52 00FFFFFF
	s_cmp_lt_u32 s82, s66                                      // 00000000CF68: BF0A4252
	s_cselect_b32 s21, s36, s60                                // 00000000CF6C: 85153C24
	s_mov_b64 exec, s[20:21]                                   // 00000000CF70: BEFE0114
	global_atomic_add_f32 v6, v141, s[8:9]                     // 00000000CF74: DD348000 00088D06
	global_atomic_add_f32 v6, v145, s[8:9] offset:256          // 00000000CF7C: DD348100 00089106
	s_mov_b64 exec, s[36:37]                                   // 00000000CF84: BEFE0124
	v_mov_b32_e32 v6, v84                                      // 00000000CF88: 7E0C0354
	s_mov_b64 s[60:61], 0                                      // 00000000CF8C: BEBC0180
	v_readlane_b32 s82, v3, 28                                 // 00000000CF90: D2890052 00013903
	s_and_b32 s82, s82, 0xffffff                               // 00000000CF98: 8652FF52 00FFFFFF
	s_cmp_lt_u32 s82, s66                                      // 00000000CFA0: BF0A4252
	s_cselect_b32 s20, s36, s60                                // 00000000CFA4: 85143C24
	v_readlane_b32 s82, v3, 29                                 // 00000000CFA8: D2890052 00013B03
	s_and_b32 s82, s82, 0xffffff                               // 00000000CFB0: 8652FF52 00FFFFFF
	s_cmp_lt_u32 s82, s66                                      // 00000000CFB8: BF0A4252
	s_cselect_b32 s21, s36, s60                                // 00000000CFBC: 85153C24
	s_mov_b64 exec, s[20:21]                                   // 00000000CFC0: BEFE0114
	global_atomic_add_f32 v6, v148, s[8:9]                     // 00000000CFC4: DD348000 00089406
	global_atomic_add_f32 v6, v152, s[8:9] offset:256          // 00000000CFCC: DD348100 00089806
	s_mov_b64 exec, s[36:37]                                   // 00000000CFD4: BEFE0124
	v_mov_b32_e32 v6, v85                                      // 00000000CFD8: 7E0C0355
	s_mov_b64 s[60:61], 0                                      // 00000000CFDC: BEBC0180
	v_readlane_b32 s82, v3, 30                                 // 00000000CFE0: D2890052 00013D03
	s_and_b32 s82, s82, 0xffffff                               // 00000000CFE8: 8652FF52 00FFFFFF
	s_cmp_lt_u32 s82, s66                                      // 00000000CFF0: BF0A4252
	s_cselect_b32 s20, s36, s60                                // 00000000CFF4: 85143C24
	v_readlane_b32 s82, v3, 31                                 // 00000000CFF8: D2890052 00013F03
	s_and_b32 s82, s82, 0xffffff                               // 00000000D000: 8652FF52 00FFFFFF
	s_cmp_lt_u32 s82, s66                                      // 00000000D008: BF0A4252
	s_cselect_b32 s21, s36, s60                                // 00000000D00C: 85153C24
	s_mov_b64 exec, s[20:21]                                   // 00000000D010: BEFE0114
	global_atomic_add_f32 v6, v149, s[8:9]                     // 00000000D014: DD348000 00089506
	global_atomic_add_f32 v6, v153, s[8:9] offset:256          // 00000000D01C: DD348100 00089906
	s_mov_b64 exec, s[36:37]                                   // 00000000D024: BEFE0124
	v_mov_b32_e32 v6, v86                                      // 00000000D028: 7E0C0356
	s_mov_b64 s[60:61], 0                                      // 00000000D02C: BEBC0180
	v_readlane_b32 s82, v3, 32                                 // 00000000D030: D2890052 00014103
	s_and_b32 s82, s82, 0xffffff                               // 00000000D038: 8652FF52 00FFFFFF
	s_cmp_lt_u32 s82, s66                                      // 00000000D040: BF0A4252
	s_cselect_b32 s20, s36, s60                                // 00000000D044: 85143C24
	v_readlane_b32 s82, v3, 33                                 // 00000000D048: D2890052 00014303
	s_and_b32 s82, s82, 0xffffff                               // 00000000D050: 8652FF52 00FFFFFF
	s_cmp_lt_u32 s82, s66                                      // 00000000D058: BF0A4252
	s_cselect_b32 s21, s36, s60                                // 00000000D05C: 85153C24
	s_mov_b64 exec, s[20:21]                                   // 00000000D060: BEFE0114
	global_atomic_add_f32 v6, v156, s[8:9]                     // 00000000D064: DD348000 00089C06
	global_atomic_add_f32 v6, v160, s[8:9] offset:256          // 00000000D06C: DD348100 0008A006
	s_mov_b64 exec, s[36:37]                                   // 00000000D074: BEFE0124
	v_mov_b32_e32 v6, v87                                      // 00000000D078: 7E0C0357
	s_mov_b64 s[60:61], 0                                      // 00000000D07C: BEBC0180
	v_readlane_b32 s82, v3, 34                                 // 00000000D080: D2890052 00014503
	s_and_b32 s82, s82, 0xffffff                               // 00000000D088: 8652FF52 00FFFFFF
	s_cmp_lt_u32 s82, s66                                      // 00000000D090: BF0A4252
	s_cselect_b32 s20, s36, s60                                // 00000000D094: 85143C24
	v_readlane_b32 s82, v3, 35                                 // 00000000D098: D2890052 00014703
	s_and_b32 s82, s82, 0xffffff                               // 00000000D0A0: 8652FF52 00FFFFFF
	s_cmp_lt_u32 s82, s66                                      // 00000000D0A8: BF0A4252
	s_cselect_b32 s21, s36, s60                                // 00000000D0AC: 85153C24
	s_mov_b64 exec, s[20:21]                                   // 00000000D0B0: BEFE0114
	global_atomic_add_f32 v6, v157, s[8:9]                     // 00000000D0B4: DD348000 00089D06
	global_atomic_add_f32 v6, v161, s[8:9] offset:256          // 00000000D0BC: DD348100 0008A106
	s_mov_b64 exec, s[36:37]                                   // 00000000D0C4: BEFE0124
	v_mov_b32_e32 v6, v88                                      // 00000000D0C8: 7E0C0358
	s_mov_b64 s[60:61], 0                                      // 00000000D0CC: BEBC0180
	v_readlane_b32 s82, v3, 36                                 // 00000000D0D0: D2890052 00014903
	s_and_b32 s82, s82, 0xffffff                               // 00000000D0D8: 8652FF52 00FFFFFF
	s_cmp_lt_u32 s82, s66                                      // 00000000D0E0: BF0A4252
	s_cselect_b32 s20, s36, s60                                // 00000000D0E4: 85143C24
	v_readlane_b32 s82, v3, 37                                 // 00000000D0E8: D2890052 00014B03
	s_and_b32 s82, s82, 0xffffff                               // 00000000D0F0: 8652FF52 00FFFFFF
	s_cmp_lt_u32 s82, s66                                      // 00000000D0F8: BF0A4252
	s_cselect_b32 s21, s36, s60                                // 00000000D0FC: 85153C24
	s_mov_b64 exec, s[20:21]                                   // 00000000D100: BEFE0114
	global_atomic_add_f32 v6, v164, s[8:9]                     // 00000000D104: DD348000 0008A406
	global_atomic_add_f32 v6, v168, s[8:9] offset:256          // 00000000D10C: DD348100 0008A806
	s_mov_b64 exec, s[36:37]                                   // 00000000D114: BEFE0124
	v_mov_b32_e32 v6, v89                                      // 00000000D118: 7E0C0359
	s_mov_b64 s[60:61], 0                                      // 00000000D11C: BEBC0180
	v_readlane_b32 s82, v3, 38                                 // 00000000D120: D2890052 00014D03
	s_and_b32 s82, s82, 0xffffff                               // 00000000D128: 8652FF52 00FFFFFF
	s_cmp_lt_u32 s82, s66                                      // 00000000D130: BF0A4252
	s_cselect_b32 s20, s36, s60                                // 00000000D134: 85143C24
	v_readlane_b32 s82, v3, 39                                 // 00000000D138: D2890052 00014F03
	s_and_b32 s82, s82, 0xffffff                               // 00000000D140: 8652FF52 00FFFFFF
	s_cmp_lt_u32 s82, s66                                      // 00000000D148: BF0A4252
	s_cselect_b32 s21, s36, s60                                // 00000000D14C: 85153C24
	s_mov_b64 exec, s[20:21]                                   // 00000000D150: BEFE0114
	global_atomic_add_f32 v6, v165, s[8:9]                     // 00000000D154: DD348000 0008A506
	global_atomic_add_f32 v6, v169, s[8:9] offset:256          // 00000000D15C: DD348100 0008A906
	s_mov_b64 exec, s[36:37]                                   // 00000000D164: BEFE0124
	ds_write_b64 v20, v[94:95]                                 // 00000000D168: D89A0000 00005E14
	ds_write_b64 v20, v[98:99] offset:4352                     // 00000000D170: D89A1100 00006214
	ds_write_b64 v20, v[102:103] offset:8704                   // 00000000D178: D89A2200 00006614
	ds_write_b64 v20, v[106:107] offset:13056                  // 00000000D180: D89A3300 00006A14
	ds_write_b64 v20, v[110:111] offset:17408                  // 00000000D188: D89A4400 00006E14
	ds_write_b64 v20, v[114:115] offset:21760                  // 00000000D190: D89A5500 00007214
	ds_write_b64 v20, v[118:119] offset:26112                  // 00000000D198: D89A6600 00007614
	ds_write_b64 v20, v[122:123] offset:30464                  // 00000000D1A0: D89A7700 00007A14
	ds_write_b64 v20, v[126:127] offset:34816                  // 00000000D1A8: D89A8800 00007E14
	ds_write_b64 v20, v[130:131] offset:39168                  // 00000000D1B0: D89A9900 00008214
	ds_write_b64 v20, v[134:135] offset:2176                   // 00000000D1B8: D89A0880 00008614
	ds_write_b64 v20, v[138:139] offset:6528                   // 00000000D1C0: D89A1980 00008A14
	ds_write_b64 v20, v[142:143] offset:10880                  // 00000000D1C8: D89A2A80 00008E14
	ds_write_b64 v20, v[146:147] offset:15232                  // 00000000D1D0: D89A3B80 00009214
	ds_write_b64 v20, v[150:151] offset:19584                  // 00000000D1D8: D89A4C80 00009614
	ds_write_b64 v20, v[154:155] offset:23936                  // 00000000D1E0: D89A5D80 00009A14
	ds_write_b64 v20, v[158:159] offset:28288                  // 00000000D1E8: D89A6E80 00009E14
	ds_write_b64 v20, v[162:163] offset:32640                  // 00000000D1F0: D89A7F80 0000A214
	ds_write_b64 v20, v[166:167] offset:36992                  // 00000000D1F8: D89A9080 0000A614
	ds_write_b64 v20, v[170:171] offset:41344                  // 00000000D200: D89AA180 0000AA14
	s_waitcnt lgkmcnt(0)                                       // 00000000D208: BF8CC07F
	s_barrier                                                  // 00000000D20C: BF8A0000
	ds_read_b32 v94, v21                                       // 00000000D210: D86C0000 5E000015
	ds_read_b32 v95, v21 offset:64                             // 00000000D218: D86C0040 5F000015
	ds_read_b32 v98, v21 offset:2176                           // 00000000D220: D86C0880 62000015
	ds_read_b32 v99, v21 offset:2240                           // 00000000D228: D86C08C0 63000015
	ds_read_b32 v102, v21 offset:4352                          // 00000000D230: D86C1100 66000015
	ds_read_b32 v103, v21 offset:4416                          // 00000000D238: D86C1140 67000015
	ds_read_b32 v106, v21 offset:6528                          // 00000000D240: D86C1980 6A000015
	ds_read_b32 v107, v21 offset:6592                          // 00000000D248: D86C19C0 6B000015
	ds_read_b32 v110, v21 offset:8704                          // 00000000D250: D86C2200 6E000015
	ds_read_b32 v111, v21 offset:8768                          // 00000000D258: D86C2240 6F000015
	ds_read_b32 v114, v21 offset:10880                         // 00000000D260: D86C2A80 72000015
	ds_read_b32 v115, v21 offset:10944                         // 00000000D268: D86C2AC0 73000015
	ds_read_b32 v118, v21 offset:13056                         // 00000000D270: D86C3300 76000015
	ds_read_b32 v119, v21 offset:13120                         // 00000000D278: D86C3340 77000015
	ds_read_b32 v122, v21 offset:15232                         // 00000000D280: D86C3B80 7A000015
	ds_read_b32 v123, v21 offset:15296                         // 00000000D288: D86C3BC0 7B000015
	ds_read_b32 v126, v21 offset:17408                         // 00000000D290: D86C4400 7E000015
	ds_read_b32 v127, v21 offset:17472                         // 00000000D298: D86C4440 7F000015
	ds_read_b32 v130, v21 offset:19584                         // 00000000D2A0: D86C4C80 82000015
	ds_read_b32 v131, v21 offset:19648                         // 00000000D2A8: D86C4CC0 83000015
	ds_read_b32 v134, v21 offset:21760                         // 00000000D2B0: D86C5500 86000015
	ds_read_b32 v135, v21 offset:21824                         // 00000000D2B8: D86C5540 87000015
	ds_read_b32 v138, v21 offset:23936                         // 00000000D2C0: D86C5D80 8A000015
	ds_read_b32 v139, v21 offset:24000                         // 00000000D2C8: D86C5DC0 8B000015
	ds_read_b32 v142, v21 offset:26112                         // 00000000D2D0: D86C6600 8E000015
	ds_read_b32 v143, v21 offset:26176                         // 00000000D2D8: D86C6640 8F000015
	ds_read_b32 v146, v21 offset:28288                         // 00000000D2E0: D86C6E80 92000015
	ds_read_b32 v147, v21 offset:28352                         // 00000000D2E8: D86C6EC0 93000015
	ds_read_b32 v150, v21 offset:30464                         // 00000000D2F0: D86C7700 96000015
	ds_read_b32 v151, v21 offset:30528                         // 00000000D2F8: D86C7740 97000015
	ds_read_b32 v154, v21 offset:32640                         // 00000000D300: D86C7F80 9A000015
	ds_read_b32 v155, v21 offset:32704                         // 00000000D308: D86C7FC0 9B000015
	ds_read_b32 v158, v21 offset:34816                         // 00000000D310: D86C8800 9E000015
	ds_read_b32 v159, v21 offset:34880                         // 00000000D318: D86C8840 9F000015
	ds_read_b32 v162, v21 offset:36992                         // 00000000D320: D86C9080 A2000015
	ds_read_b32 v163, v21 offset:37056                         // 00000000D328: D86C90C0 A3000015
	ds_read_b32 v166, v21 offset:39168                         // 00000000D330: D86C9900 A6000015
	ds_read_b32 v167, v21 offset:39232                         // 00000000D338: D86C9940 A7000015
	ds_read_b32 v170, v21 offset:41344                         // 00000000D340: D86CA180 AA000015
	ds_read_b32 v171, v21 offset:41408                         // 00000000D348: D86CA1C0 AB000015
	s_waitcnt lgkmcnt(0)                                       // 00000000D350: BF8CC07F
	v_mov_b32_e32 v7, 0                                        // 00000000D354: 7E0E0280
	s_mov_b64 exec, s[36:37]                                   // 00000000D358: BEFE0124
	v_mov_b32_e32 v6, v70                                      // 00000000D35C: 7E0C0346
	s_mov_b64 s[60:61], 0                                      // 00000000D360: BEBC0180
	v_readlane_b32 s82, v3, 0                                  // 00000000D364: D2890052 00010103
	s_and_b32 s82, s82, 0xffffff                               // 00000000D36C: 8652FF52 00FFFFFF
	s_cmp_lt_u32 s82, s66                                      // 00000000D374: BF0A4252
	s_cselect_b32 s20, s36, s60                                // 00000000D378: 85143C24
	v_readlane_b32 s82, v3, 1                                  // 00000000D37C: D2890052 00010303
	s_and_b32 s82, s82, 0xffffff                               // 00000000D384: 8652FF52 00FFFFFF
	s_cmp_lt_u32 s82, s66                                      // 00000000D38C: BF0A4252
	s_cselect_b32 s21, s36, s60                                // 00000000D390: 85153C24
	s_mov_b64 exec, s[20:21]                                   // 00000000D394: BEFE0114
	global_atomic_add_f32 v6, v94, s[8:9] offset:8             // 00000000D398: DD348008 00085E06
	global_atomic_add_f32 v6, v98, s[8:9] offset:264           // 00000000D3A0: DD348108 00086206
	s_mov_b64 exec, s[36:37]                                   // 00000000D3A8: BEFE0124
	v_mov_b32_e32 v6, v71                                      // 00000000D3AC: 7E0C0347
	s_mov_b64 s[60:61], 0                                      // 00000000D3B0: BEBC0180
	v_readlane_b32 s82, v3, 2                                  // 00000000D3B4: D2890052 00010503
	s_and_b32 s82, s82, 0xffffff                               // 00000000D3BC: 8652FF52 00FFFFFF
	s_cmp_lt_u32 s82, s66                                      // 00000000D3C4: BF0A4252
	s_cselect_b32 s20, s36, s60                                // 00000000D3C8: 85143C24
	v_readlane_b32 s82, v3, 3                                  // 00000000D3CC: D2890052 00010703
	s_and_b32 s82, s82, 0xffffff                               // 00000000D3D4: 8652FF52 00FFFFFF
	s_cmp_lt_u32 s82, s66                                      // 00000000D3DC: BF0A4252
	s_cselect_b32 s21, s36, s60                                // 00000000D3E0: 85153C24
	s_mov_b64 exec, s[20:21]                                   // 00000000D3E4: BEFE0114
	global_atomic_add_f32 v6, v95, s[8:9] offset:8             // 00000000D3E8: DD348008 00085F06
	global_atomic_add_f32 v6, v99, s[8:9] offset:264           // 00000000D3F0: DD348108 00086306
	s_mov_b64 exec, s[36:37]                                   // 00000000D3F8: BEFE0124
	v_mov_b32_e32 v6, v72                                      // 00000000D3FC: 7E0C0348
	s_mov_b64 s[60:61], 0                                      // 00000000D400: BEBC0180
	v_readlane_b32 s82, v3, 4                                  // 00000000D404: D2890052 00010903
	s_and_b32 s82, s82, 0xffffff                               // 00000000D40C: 8652FF52 00FFFFFF
	s_cmp_lt_u32 s82, s66                                      // 00000000D414: BF0A4252
	s_cselect_b32 s20, s36, s60                                // 00000000D418: 85143C24
	v_readlane_b32 s82, v3, 5                                  // 00000000D41C: D2890052 00010B03
	s_and_b32 s82, s82, 0xffffff                               // 00000000D424: 8652FF52 00FFFFFF
	s_cmp_lt_u32 s82, s66                                      // 00000000D42C: BF0A4252
	s_cselect_b32 s21, s36, s60                                // 00000000D430: 85153C24
	s_mov_b64 exec, s[20:21]                                   // 00000000D434: BEFE0114
	global_atomic_add_f32 v6, v102, s[8:9] offset:8            // 00000000D438: DD348008 00086606
	global_atomic_add_f32 v6, v106, s[8:9] offset:264          // 00000000D440: DD348108 00086A06
	s_mov_b64 exec, s[36:37]                                   // 00000000D448: BEFE0124
	v_mov_b32_e32 v6, v73                                      // 00000000D44C: 7E0C0349
	s_mov_b64 s[60:61], 0                                      // 00000000D450: BEBC0180
	v_readlane_b32 s82, v3, 6                                  // 00000000D454: D2890052 00010D03
	s_and_b32 s82, s82, 0xffffff                               // 00000000D45C: 8652FF52 00FFFFFF
	s_cmp_lt_u32 s82, s66                                      // 00000000D464: BF0A4252
	s_cselect_b32 s20, s36, s60                                // 00000000D468: 85143C24
	v_readlane_b32 s82, v3, 7                                  // 00000000D46C: D2890052 00010F03
	s_and_b32 s82, s82, 0xffffff                               // 00000000D474: 8652FF52 00FFFFFF
	s_cmp_lt_u32 s82, s66                                      // 00000000D47C: BF0A4252
	s_cselect_b32 s21, s36, s60                                // 00000000D480: 85153C24
	s_mov_b64 exec, s[20:21]                                   // 00000000D484: BEFE0114
	global_atomic_add_f32 v6, v103, s[8:9] offset:8            // 00000000D488: DD348008 00086706
	global_atomic_add_f32 v6, v107, s[8:9] offset:264          // 00000000D490: DD348108 00086B06
	s_mov_b64 exec, s[36:37]                                   // 00000000D498: BEFE0124
	v_mov_b32_e32 v6, v74                                      // 00000000D49C: 7E0C034A
	s_mov_b64 s[60:61], 0                                      // 00000000D4A0: BEBC0180
	v_readlane_b32 s82, v3, 8                                  // 00000000D4A4: D2890052 00011103
	s_and_b32 s82, s82, 0xffffff                               // 00000000D4AC: 8652FF52 00FFFFFF
	s_cmp_lt_u32 s82, s66                                      // 00000000D4B4: BF0A4252
	s_cselect_b32 s20, s36, s60                                // 00000000D4B8: 85143C24
	v_readlane_b32 s82, v3, 9                                  // 00000000D4BC: D2890052 00011303
	s_and_b32 s82, s82, 0xffffff                               // 00000000D4C4: 8652FF52 00FFFFFF
	s_cmp_lt_u32 s82, s66                                      // 00000000D4CC: BF0A4252
	s_cselect_b32 s21, s36, s60                                // 00000000D4D0: 85153C24
	s_mov_b64 exec, s[20:21]                                   // 00000000D4D4: BEFE0114
	global_atomic_add_f32 v6, v110, s[8:9] offset:8            // 00000000D4D8: DD348008 00086E06
	global_atomic_add_f32 v6, v114, s[8:9] offset:264          // 00000000D4E0: DD348108 00087206
	s_mov_b64 exec, s[36:37]                                   // 00000000D4E8: BEFE0124
	v_mov_b32_e32 v6, v75                                      // 00000000D4EC: 7E0C034B
	s_mov_b64 s[60:61], 0                                      // 00000000D4F0: BEBC0180
	v_readlane_b32 s82, v3, 10                                 // 00000000D4F4: D2890052 00011503
	s_and_b32 s82, s82, 0xffffff                               // 00000000D4FC: 8652FF52 00FFFFFF
	s_cmp_lt_u32 s82, s66                                      // 00000000D504: BF0A4252
	s_cselect_b32 s20, s36, s60                                // 00000000D508: 85143C24
	v_readlane_b32 s82, v3, 11                                 // 00000000D50C: D2890052 00011703
	s_and_b32 s82, s82, 0xffffff                               // 00000000D514: 8652FF52 00FFFFFF
	s_cmp_lt_u32 s82, s66                                      // 00000000D51C: BF0A4252
	s_cselect_b32 s21, s36, s60                                // 00000000D520: 85153C24
	s_mov_b64 exec, s[20:21]                                   // 00000000D524: BEFE0114
	global_atomic_add_f32 v6, v111, s[8:9] offset:8            // 00000000D528: DD348008 00086F06
	global_atomic_add_f32 v6, v115, s[8:9] offset:264          // 00000000D530: DD348108 00087306
	s_mov_b64 exec, s[36:37]                                   // 00000000D538: BEFE0124
	v_mov_b32_e32 v6, v76                                      // 00000000D53C: 7E0C034C
	s_mov_b64 s[60:61], 0                                      // 00000000D540: BEBC0180
	v_readlane_b32 s82, v3, 12                                 // 00000000D544: D2890052 00011903
	s_and_b32 s82, s82, 0xffffff                               // 00000000D54C: 8652FF52 00FFFFFF
	s_cmp_lt_u32 s82, s66                                      // 00000000D554: BF0A4252
	s_cselect_b32 s20, s36, s60                                // 00000000D558: 85143C24
	v_readlane_b32 s82, v3, 13                                 // 00000000D55C: D2890052 00011B03
	s_and_b32 s82, s82, 0xffffff                               // 00000000D564: 8652FF52 00FFFFFF
	s_cmp_lt_u32 s82, s66                                      // 00000000D56C: BF0A4252
	s_cselect_b32 s21, s36, s60                                // 00000000D570: 85153C24
	s_mov_b64 exec, s[20:21]                                   // 00000000D574: BEFE0114
	global_atomic_add_f32 v6, v118, s[8:9] offset:8            // 00000000D578: DD348008 00087606
	global_atomic_add_f32 v6, v122, s[8:9] offset:264          // 00000000D580: DD348108 00087A06
	s_mov_b64 exec, s[36:37]                                   // 00000000D588: BEFE0124
	v_mov_b32_e32 v6, v77                                      // 00000000D58C: 7E0C034D
	s_mov_b64 s[60:61], 0                                      // 00000000D590: BEBC0180
	v_readlane_b32 s82, v3, 14                                 // 00000000D594: D2890052 00011D03
	s_and_b32 s82, s82, 0xffffff                               // 00000000D59C: 8652FF52 00FFFFFF
	s_cmp_lt_u32 s82, s66                                      // 00000000D5A4: BF0A4252
	s_cselect_b32 s20, s36, s60                                // 00000000D5A8: 85143C24
	v_readlane_b32 s82, v3, 15                                 // 00000000D5AC: D2890052 00011F03
	s_and_b32 s82, s82, 0xffffff                               // 00000000D5B4: 8652FF52 00FFFFFF
	s_cmp_lt_u32 s82, s66                                      // 00000000D5BC: BF0A4252
	s_cselect_b32 s21, s36, s60                                // 00000000D5C0: 85153C24
	s_mov_b64 exec, s[20:21]                                   // 00000000D5C4: BEFE0114
	global_atomic_add_f32 v6, v119, s[8:9] offset:8            // 00000000D5C8: DD348008 00087706
	global_atomic_add_f32 v6, v123, s[8:9] offset:264          // 00000000D5D0: DD348108 00087B06
	s_mov_b64 exec, s[36:37]                                   // 00000000D5D8: BEFE0124
	v_mov_b32_e32 v6, v78                                      // 00000000D5DC: 7E0C034E
	s_mov_b64 s[60:61], 0                                      // 00000000D5E0: BEBC0180
	v_readlane_b32 s82, v3, 16                                 // 00000000D5E4: D2890052 00012103
	s_and_b32 s82, s82, 0xffffff                               // 00000000D5EC: 8652FF52 00FFFFFF
	s_cmp_lt_u32 s82, s66                                      // 00000000D5F4: BF0A4252
	s_cselect_b32 s20, s36, s60                                // 00000000D5F8: 85143C24
	v_readlane_b32 s82, v3, 17                                 // 00000000D5FC: D2890052 00012303
	s_and_b32 s82, s82, 0xffffff                               // 00000000D604: 8652FF52 00FFFFFF
	s_cmp_lt_u32 s82, s66                                      // 00000000D60C: BF0A4252
	s_cselect_b32 s21, s36, s60                                // 00000000D610: 85153C24
	s_mov_b64 exec, s[20:21]                                   // 00000000D614: BEFE0114
	global_atomic_add_f32 v6, v126, s[8:9] offset:8            // 00000000D618: DD348008 00087E06
	global_atomic_add_f32 v6, v130, s[8:9] offset:264          // 00000000D620: DD348108 00088206
	s_mov_b64 exec, s[36:37]                                   // 00000000D628: BEFE0124
	v_mov_b32_e32 v6, v79                                      // 00000000D62C: 7E0C034F
	s_mov_b64 s[60:61], 0                                      // 00000000D630: BEBC0180
	v_readlane_b32 s82, v3, 18                                 // 00000000D634: D2890052 00012503
	s_and_b32 s82, s82, 0xffffff                               // 00000000D63C: 8652FF52 00FFFFFF
	s_cmp_lt_u32 s82, s66                                      // 00000000D644: BF0A4252
	s_cselect_b32 s20, s36, s60                                // 00000000D648: 85143C24
	v_readlane_b32 s82, v3, 19                                 // 00000000D64C: D2890052 00012703
	s_and_b32 s82, s82, 0xffffff                               // 00000000D654: 8652FF52 00FFFFFF
	s_cmp_lt_u32 s82, s66                                      // 00000000D65C: BF0A4252
	s_cselect_b32 s21, s36, s60                                // 00000000D660: 85153C24
	s_mov_b64 exec, s[20:21]                                   // 00000000D664: BEFE0114
	global_atomic_add_f32 v6, v127, s[8:9] offset:8            // 00000000D668: DD348008 00087F06
	global_atomic_add_f32 v6, v131, s[8:9] offset:264          // 00000000D670: DD348108 00088306
	s_mov_b64 exec, s[36:37]                                   // 00000000D678: BEFE0124
	v_mov_b32_e32 v6, v80                                      // 00000000D67C: 7E0C0350
	s_mov_b64 s[60:61], 0                                      // 00000000D680: BEBC0180
	v_readlane_b32 s82, v3, 20                                 // 00000000D684: D2890052 00012903
	s_and_b32 s82, s82, 0xffffff                               // 00000000D68C: 8652FF52 00FFFFFF
	s_cmp_lt_u32 s82, s66                                      // 00000000D694: BF0A4252
	s_cselect_b32 s20, s36, s60                                // 00000000D698: 85143C24
	v_readlane_b32 s82, v3, 21                                 // 00000000D69C: D2890052 00012B03
	s_and_b32 s82, s82, 0xffffff                               // 00000000D6A4: 8652FF52 00FFFFFF
	s_cmp_lt_u32 s82, s66                                      // 00000000D6AC: BF0A4252
	s_cselect_b32 s21, s36, s60                                // 00000000D6B0: 85153C24
	s_mov_b64 exec, s[20:21]                                   // 00000000D6B4: BEFE0114
	global_atomic_add_f32 v6, v134, s[8:9] offset:8            // 00000000D6B8: DD348008 00088606
	global_atomic_add_f32 v6, v138, s[8:9] offset:264          // 00000000D6C0: DD348108 00088A06
	s_mov_b64 exec, s[36:37]                                   // 00000000D6C8: BEFE0124
	v_mov_b32_e32 v6, v81                                      // 00000000D6CC: 7E0C0351
	s_mov_b64 s[60:61], 0                                      // 00000000D6D0: BEBC0180
	v_readlane_b32 s82, v3, 22                                 // 00000000D6D4: D2890052 00012D03
	s_and_b32 s82, s82, 0xffffff                               // 00000000D6DC: 8652FF52 00FFFFFF
	s_cmp_lt_u32 s82, s66                                      // 00000000D6E4: BF0A4252
	s_cselect_b32 s20, s36, s60                                // 00000000D6E8: 85143C24
	v_readlane_b32 s82, v3, 23                                 // 00000000D6EC: D2890052 00012F03
	s_and_b32 s82, s82, 0xffffff                               // 00000000D6F4: 8652FF52 00FFFFFF
	s_cmp_lt_u32 s82, s66                                      // 00000000D6FC: BF0A4252
	s_cselect_b32 s21, s36, s60                                // 00000000D700: 85153C24
	s_mov_b64 exec, s[20:21]                                   // 00000000D704: BEFE0114
	global_atomic_add_f32 v6, v135, s[8:9] offset:8            // 00000000D708: DD348008 00088706
	global_atomic_add_f32 v6, v139, s[8:9] offset:264          // 00000000D710: DD348108 00088B06
	s_mov_b64 exec, s[36:37]                                   // 00000000D718: BEFE0124
	v_mov_b32_e32 v6, v82                                      // 00000000D71C: 7E0C0352
	s_mov_b64 s[60:61], 0                                      // 00000000D720: BEBC0180
	v_readlane_b32 s82, v3, 24                                 // 00000000D724: D2890052 00013103
	s_and_b32 s82, s82, 0xffffff                               // 00000000D72C: 8652FF52 00FFFFFF
	s_cmp_lt_u32 s82, s66                                      // 00000000D734: BF0A4252
	s_cselect_b32 s20, s36, s60                                // 00000000D738: 85143C24
	v_readlane_b32 s82, v3, 25                                 // 00000000D73C: D2890052 00013303
	s_and_b32 s82, s82, 0xffffff                               // 00000000D744: 8652FF52 00FFFFFF
	s_cmp_lt_u32 s82, s66                                      // 00000000D74C: BF0A4252
	s_cselect_b32 s21, s36, s60                                // 00000000D750: 85153C24
	s_mov_b64 exec, s[20:21]                                   // 00000000D754: BEFE0114
	global_atomic_add_f32 v6, v142, s[8:9] offset:8            // 00000000D758: DD348008 00088E06
	global_atomic_add_f32 v6, v146, s[8:9] offset:264          // 00000000D760: DD348108 00089206
	s_mov_b64 exec, s[36:37]                                   // 00000000D768: BEFE0124
	v_mov_b32_e32 v6, v83                                      // 00000000D76C: 7E0C0353
	s_mov_b64 s[60:61], 0                                      // 00000000D770: BEBC0180
	v_readlane_b32 s82, v3, 26                                 // 00000000D774: D2890052 00013503
	s_and_b32 s82, s82, 0xffffff                               // 00000000D77C: 8652FF52 00FFFFFF
	s_cmp_lt_u32 s82, s66                                      // 00000000D784: BF0A4252
	s_cselect_b32 s20, s36, s60                                // 00000000D788: 85143C24
	v_readlane_b32 s82, v3, 27                                 // 00000000D78C: D2890052 00013703
	s_and_b32 s82, s82, 0xffffff                               // 00000000D794: 8652FF52 00FFFFFF
	s_cmp_lt_u32 s82, s66                                      // 00000000D79C: BF0A4252
	s_cselect_b32 s21, s36, s60                                // 00000000D7A0: 85153C24
	s_mov_b64 exec, s[20:21]                                   // 00000000D7A4: BEFE0114
	global_atomic_add_f32 v6, v143, s[8:9] offset:8            // 00000000D7A8: DD348008 00088F06
	global_atomic_add_f32 v6, v147, s[8:9] offset:264          // 00000000D7B0: DD348108 00089306
	s_mov_b64 exec, s[36:37]                                   // 00000000D7B8: BEFE0124
	v_mov_b32_e32 v6, v84                                      // 00000000D7BC: 7E0C0354
	s_mov_b64 s[60:61], 0                                      // 00000000D7C0: BEBC0180
	v_readlane_b32 s82, v3, 28                                 // 00000000D7C4: D2890052 00013903
	s_and_b32 s82, s82, 0xffffff                               // 00000000D7CC: 8652FF52 00FFFFFF
	s_cmp_lt_u32 s82, s66                                      // 00000000D7D4: BF0A4252
	s_cselect_b32 s20, s36, s60                                // 00000000D7D8: 85143C24
	v_readlane_b32 s82, v3, 29                                 // 00000000D7DC: D2890052 00013B03
	s_and_b32 s82, s82, 0xffffff                               // 00000000D7E4: 8652FF52 00FFFFFF
	s_cmp_lt_u32 s82, s66                                      // 00000000D7EC: BF0A4252
	s_cselect_b32 s21, s36, s60                                // 00000000D7F0: 85153C24
	s_mov_b64 exec, s[20:21]                                   // 00000000D7F4: BEFE0114
	global_atomic_add_f32 v6, v150, s[8:9] offset:8            // 00000000D7F8: DD348008 00089606
	global_atomic_add_f32 v6, v154, s[8:9] offset:264          // 00000000D800: DD348108 00089A06
	s_mov_b64 exec, s[36:37]                                   // 00000000D808: BEFE0124
	v_mov_b32_e32 v6, v85                                      // 00000000D80C: 7E0C0355
	s_mov_b64 s[60:61], 0                                      // 00000000D810: BEBC0180
	v_readlane_b32 s82, v3, 30                                 // 00000000D814: D2890052 00013D03
	s_and_b32 s82, s82, 0xffffff                               // 00000000D81C: 8652FF52 00FFFFFF
	s_cmp_lt_u32 s82, s66                                      // 00000000D824: BF0A4252
	s_cselect_b32 s20, s36, s60                                // 00000000D828: 85143C24
	v_readlane_b32 s82, v3, 31                                 // 00000000D82C: D2890052 00013F03
	s_and_b32 s82, s82, 0xffffff                               // 00000000D834: 8652FF52 00FFFFFF
	s_cmp_lt_u32 s82, s66                                      // 00000000D83C: BF0A4252
	s_cselect_b32 s21, s36, s60                                // 00000000D840: 85153C24
	s_mov_b64 exec, s[20:21]                                   // 00000000D844: BEFE0114
	global_atomic_add_f32 v6, v151, s[8:9] offset:8            // 00000000D848: DD348008 00089706
	global_atomic_add_f32 v6, v155, s[8:9] offset:264          // 00000000D850: DD348108 00089B06
	s_mov_b64 exec, s[36:37]                                   // 00000000D858: BEFE0124
	v_mov_b32_e32 v6, v86                                      // 00000000D85C: 7E0C0356
	s_mov_b64 s[60:61], 0                                      // 00000000D860: BEBC0180
	v_readlane_b32 s82, v3, 32                                 // 00000000D864: D2890052 00014103
	s_and_b32 s82, s82, 0xffffff                               // 00000000D86C: 8652FF52 00FFFFFF
	s_cmp_lt_u32 s82, s66                                      // 00000000D874: BF0A4252
	s_cselect_b32 s20, s36, s60                                // 00000000D878: 85143C24
	v_readlane_b32 s82, v3, 33                                 // 00000000D87C: D2890052 00014303
	s_and_b32 s82, s82, 0xffffff                               // 00000000D884: 8652FF52 00FFFFFF
	s_cmp_lt_u32 s82, s66                                      // 00000000D88C: BF0A4252
	s_cselect_b32 s21, s36, s60                                // 00000000D890: 85153C24
	s_mov_b64 exec, s[20:21]                                   // 00000000D894: BEFE0114
	global_atomic_add_f32 v6, v158, s[8:9] offset:8            // 00000000D898: DD348008 00089E06
	global_atomic_add_f32 v6, v162, s[8:9] offset:264          // 00000000D8A0: DD348108 0008A206
	s_mov_b64 exec, s[36:37]                                   // 00000000D8A8: BEFE0124
	v_mov_b32_e32 v6, v87                                      // 00000000D8AC: 7E0C0357
	s_mov_b64 s[60:61], 0                                      // 00000000D8B0: BEBC0180
	v_readlane_b32 s82, v3, 34                                 // 00000000D8B4: D2890052 00014503
	s_and_b32 s82, s82, 0xffffff                               // 00000000D8BC: 8652FF52 00FFFFFF
	s_cmp_lt_u32 s82, s66                                      // 00000000D8C4: BF0A4252
	s_cselect_b32 s20, s36, s60                                // 00000000D8C8: 85143C24
	v_readlane_b32 s82, v3, 35                                 // 00000000D8CC: D2890052 00014703
	s_and_b32 s82, s82, 0xffffff                               // 00000000D8D4: 8652FF52 00FFFFFF
	s_cmp_lt_u32 s82, s66                                      // 00000000D8DC: BF0A4252
	s_cselect_b32 s21, s36, s60                                // 00000000D8E0: 85153C24
	s_mov_b64 exec, s[20:21]                                   // 00000000D8E4: BEFE0114
	global_atomic_add_f32 v6, v159, s[8:9] offset:8            // 00000000D8E8: DD348008 00089F06
	global_atomic_add_f32 v6, v163, s[8:9] offset:264          // 00000000D8F0: DD348108 0008A306
	s_mov_b64 exec, s[36:37]                                   // 00000000D8F8: BEFE0124
	v_mov_b32_e32 v6, v88                                      // 00000000D8FC: 7E0C0358
	s_mov_b64 s[60:61], 0                                      // 00000000D900: BEBC0180
	v_readlane_b32 s82, v3, 36                                 // 00000000D904: D2890052 00014903
	s_and_b32 s82, s82, 0xffffff                               // 00000000D90C: 8652FF52 00FFFFFF
	s_cmp_lt_u32 s82, s66                                      // 00000000D914: BF0A4252
	s_cselect_b32 s20, s36, s60                                // 00000000D918: 85143C24
	v_readlane_b32 s82, v3, 37                                 // 00000000D91C: D2890052 00014B03
	s_and_b32 s82, s82, 0xffffff                               // 00000000D924: 8652FF52 00FFFFFF
	s_cmp_lt_u32 s82, s66                                      // 00000000D92C: BF0A4252
	s_cselect_b32 s21, s36, s60                                // 00000000D930: 85153C24
	s_mov_b64 exec, s[20:21]                                   // 00000000D934: BEFE0114
	global_atomic_add_f32 v6, v166, s[8:9] offset:8            // 00000000D938: DD348008 0008A606
	global_atomic_add_f32 v6, v170, s[8:9] offset:264          // 00000000D940: DD348108 0008AA06
	s_mov_b64 exec, s[36:37]                                   // 00000000D948: BEFE0124
	v_mov_b32_e32 v6, v89                                      // 00000000D94C: 7E0C0359
	s_mov_b64 s[60:61], 0                                      // 00000000D950: BEBC0180
	v_readlane_b32 s82, v3, 38                                 // 00000000D954: D2890052 00014D03
	s_and_b32 s82, s82, 0xffffff                               // 00000000D95C: 8652FF52 00FFFFFF
	s_cmp_lt_u32 s82, s66                                      // 00000000D964: BF0A4252
	s_cselect_b32 s20, s36, s60                                // 00000000D968: 85143C24
	v_readlane_b32 s82, v3, 39                                 // 00000000D96C: D2890052 00014F03
	s_and_b32 s82, s82, 0xffffff                               // 00000000D974: 8652FF52 00FFFFFF
	s_cmp_lt_u32 s82, s66                                      // 00000000D97C: BF0A4252
	s_cselect_b32 s21, s36, s60                                // 00000000D980: 85153C24
	s_mov_b64 exec, s[20:21]                                   // 00000000D984: BEFE0114
	global_atomic_add_f32 v6, v167, s[8:9] offset:8            // 00000000D988: DD348008 0008A706
	global_atomic_add_f32 v6, v171, s[8:9] offset:264          // 00000000D990: DD348108 0008AB06
	s_mov_b64 exec, s[36:37]                                   // 00000000D998: BEFE0124
	ds_write_b64 v20, v[172:173]                               // 00000000D99C: D89A0000 0000AC14
	ds_write_b64 v20, v[176:177] offset:4352                   // 00000000D9A4: D89A1100 0000B014
	ds_write_b64 v20, v[180:181] offset:8704                   // 00000000D9AC: D89A2200 0000B414
	ds_write_b64 v20, v[184:185] offset:13056                  // 00000000D9B4: D89A3300 0000B814
	ds_write_b64 v20, v[188:189] offset:17408                  // 00000000D9BC: D89A4400 0000BC14
	ds_write_b64 v20, v[192:193] offset:21760                  // 00000000D9C4: D89A5500 0000C014
	ds_write_b64 v20, v[196:197] offset:26112                  // 00000000D9CC: D89A6600 0000C414
	ds_write_b64 v20, v[200:201] offset:30464                  // 00000000D9D4: D89A7700 0000C814
	ds_write_b64 v20, v[204:205] offset:34816                  // 00000000D9DC: D89A8800 0000CC14
	ds_write_b64 v20, v[208:209] offset:39168                  // 00000000D9E4: D89A9900 0000D014
	ds_write_b64 v20, v[212:213] offset:2176                   // 00000000D9EC: D89A0880 0000D414
	ds_write_b64 v20, v[216:217] offset:6528                   // 00000000D9F4: D89A1980 0000D814
	ds_write_b64 v20, v[220:221] offset:10880                  // 00000000D9FC: D89A2A80 0000DC14
	ds_write_b64 v20, v[224:225] offset:15232                  // 00000000DA04: D89A3B80 0000E014
	ds_write_b64 v20, v[228:229] offset:19584                  // 00000000DA0C: D89A4C80 0000E414
	ds_write_b64 v20, v[232:233] offset:23936                  // 00000000DA14: D89A5D80 0000E814
	ds_write_b64 v20, v[236:237] offset:28288                  // 00000000DA1C: D89A6E80 0000EC14
	ds_write_b64 v20, v[240:241] offset:32640                  // 00000000DA24: D89A7F80 0000F014
	ds_write_b64 v20, v[244:245] offset:36992                  // 00000000DA2C: D89A9080 0000F414
	ds_write_b64 v20, v[248:249] offset:41344                  // 00000000DA34: D89AA180 0000F814
	s_waitcnt lgkmcnt(0)                                       // 00000000DA3C: BF8CC07F
	s_barrier                                                  // 00000000DA40: BF8A0000
	ds_read_b32 v172, v21                                      // 00000000DA44: D86C0000 AC000015
	ds_read_b32 v173, v21 offset:64                            // 00000000DA4C: D86C0040 AD000015
	ds_read_b32 v176, v21 offset:2176                          // 00000000DA54: D86C0880 B0000015
	ds_read_b32 v177, v21 offset:2240                          // 00000000DA5C: D86C08C0 B1000015
	ds_read_b32 v180, v21 offset:4352                          // 00000000DA64: D86C1100 B4000015
	ds_read_b32 v181, v21 offset:4416                          // 00000000DA6C: D86C1140 B5000015
	ds_read_b32 v184, v21 offset:6528                          // 00000000DA74: D86C1980 B8000015
	ds_read_b32 v185, v21 offset:6592                          // 00000000DA7C: D86C19C0 B9000015
	ds_read_b32 v188, v21 offset:8704                          // 00000000DA84: D86C2200 BC000015
	ds_read_b32 v189, v21 offset:8768                          // 00000000DA8C: D86C2240 BD000015
	ds_read_b32 v192, v21 offset:10880                         // 00000000DA94: D86C2A80 C0000015
	ds_read_b32 v193, v21 offset:10944                         // 00000000DA9C: D86C2AC0 C1000015
	ds_read_b32 v196, v21 offset:13056                         // 00000000DAA4: D86C3300 C4000015
	ds_read_b32 v197, v21 offset:13120                         // 00000000DAAC: D86C3340 C5000015
	ds_read_b32 v200, v21 offset:15232                         // 00000000DAB4: D86C3B80 C8000015
	ds_read_b32 v201, v21 offset:15296                         // 00000000DABC: D86C3BC0 C9000015
	ds_read_b32 v204, v21 offset:17408                         // 00000000DAC4: D86C4400 CC000015
	ds_read_b32 v205, v21 offset:17472                         // 00000000DACC: D86C4440 CD000015
	ds_read_b32 v208, v21 offset:19584                         // 00000000DAD4: D86C4C80 D0000015
	ds_read_b32 v209, v21 offset:19648                         // 00000000DADC: D86C4CC0 D1000015
	ds_read_b32 v212, v21 offset:21760                         // 00000000DAE4: D86C5500 D4000015
	ds_read_b32 v213, v21 offset:21824                         // 00000000DAEC: D86C5540 D5000015
	ds_read_b32 v216, v21 offset:23936                         // 00000000DAF4: D86C5D80 D8000015
	ds_read_b32 v217, v21 offset:24000                         // 00000000DAFC: D86C5DC0 D9000015
	ds_read_b32 v220, v21 offset:26112                         // 00000000DB04: D86C6600 DC000015
	ds_read_b32 v221, v21 offset:26176                         // 00000000DB0C: D86C6640 DD000015
	ds_read_b32 v224, v21 offset:28288                         // 00000000DB14: D86C6E80 E0000015
	ds_read_b32 v225, v21 offset:28352                         // 00000000DB1C: D86C6EC0 E1000015
	ds_read_b32 v228, v21 offset:30464                         // 00000000DB24: D86C7700 E4000015
	ds_read_b32 v229, v21 offset:30528                         // 00000000DB2C: D86C7740 E5000015
	ds_read_b32 v232, v21 offset:32640                         // 00000000DB34: D86C7F80 E8000015
	ds_read_b32 v233, v21 offset:32704                         // 00000000DB3C: D86C7FC0 E9000015
	ds_read_b32 v236, v21 offset:34816                         // 00000000DB44: D86C8800 EC000015
	ds_read_b32 v237, v21 offset:34880                         // 00000000DB4C: D86C8840 ED000015
	ds_read_b32 v240, v21 offset:36992                         // 00000000DB54: D86C9080 F0000015
	ds_read_b32 v241, v21 offset:37056                         // 00000000DB5C: D86C90C0 F1000015
	ds_read_b32 v244, v21 offset:39168                         // 00000000DB64: D86C9900 F4000015
	ds_read_b32 v245, v21 offset:39232                         // 00000000DB6C: D86C9940 F5000015
	ds_read_b32 v248, v21 offset:41344                         // 00000000DB74: D86CA180 F8000015
	ds_read_b32 v249, v21 offset:41408                         // 00000000DB7C: D86CA1C0 F9000015
	s_mul_i32 s60, s65, 4                                      // 00000000DB84: 923C8441
	s_add_u32 s8, s60, s8                                      // 00000000DB88: 8008083C
	s_addc_u32 s9, 0, s9                                       // 00000000DB8C: 82090980
	s_waitcnt lgkmcnt(0)                                       // 00000000DB90: BF8CC07F
	v_mov_b32_e32 v7, 0                                        // 00000000DB94: 7E0E0280
	s_mov_b64 exec, s[36:37]                                   // 00000000DB98: BEFE0124
	v_mov_b32_e32 v6, v70                                      // 00000000DB9C: 7E0C0346
	s_mov_b64 s[60:61], 0                                      // 00000000DBA0: BEBC0180
	v_readlane_b32 s82, v3, 0                                  // 00000000DBA4: D2890052 00010103
	s_and_b32 s82, s82, 0xffffff                               // 00000000DBAC: 8652FF52 00FFFFFF
	s_cmp_lt_u32 s82, s66                                      // 00000000DBB4: BF0A4252
	s_cselect_b32 s20, s36, s60                                // 00000000DBB8: 85143C24
	v_readlane_b32 s82, v3, 1                                  // 00000000DBBC: D2890052 00010303
	s_and_b32 s82, s82, 0xffffff                               // 00000000DBC4: 8652FF52 00FFFFFF
	s_cmp_lt_u32 s82, s66                                      // 00000000DBCC: BF0A4252
	s_cselect_b32 s21, s36, s60                                // 00000000DBD0: 85153C24
	s_mov_b64 exec, s[20:21]                                   // 00000000DBD4: BEFE0114
	global_atomic_add_f32 v6, v172, s[8:9]                     // 00000000DBD8: DD348000 0008AC06
	global_atomic_add_f32 v6, v176, s[8:9] offset:256          // 00000000DBE0: DD348100 0008B006
	s_mov_b64 exec, s[36:37]                                   // 00000000DBE8: BEFE0124
	v_mov_b32_e32 v6, v71                                      // 00000000DBEC: 7E0C0347
	s_mov_b64 s[60:61], 0                                      // 00000000DBF0: BEBC0180
	v_readlane_b32 s82, v3, 2                                  // 00000000DBF4: D2890052 00010503
	s_and_b32 s82, s82, 0xffffff                               // 00000000DBFC: 8652FF52 00FFFFFF
	s_cmp_lt_u32 s82, s66                                      // 00000000DC04: BF0A4252
	s_cselect_b32 s20, s36, s60                                // 00000000DC08: 85143C24
	v_readlane_b32 s82, v3, 3                                  // 00000000DC0C: D2890052 00010703
	s_and_b32 s82, s82, 0xffffff                               // 00000000DC14: 8652FF52 00FFFFFF
	s_cmp_lt_u32 s82, s66                                      // 00000000DC1C: BF0A4252
	s_cselect_b32 s21, s36, s60                                // 00000000DC20: 85153C24
	s_mov_b64 exec, s[20:21]                                   // 00000000DC24: BEFE0114
	global_atomic_add_f32 v6, v173, s[8:9]                     // 00000000DC28: DD348000 0008AD06
	global_atomic_add_f32 v6, v177, s[8:9] offset:256          // 00000000DC30: DD348100 0008B106
	s_mov_b64 exec, s[36:37]                                   // 00000000DC38: BEFE0124
	v_mov_b32_e32 v6, v72                                      // 00000000DC3C: 7E0C0348
	s_mov_b64 s[60:61], 0                                      // 00000000DC40: BEBC0180
	v_readlane_b32 s82, v3, 4                                  // 00000000DC44: D2890052 00010903
	s_and_b32 s82, s82, 0xffffff                               // 00000000DC4C: 8652FF52 00FFFFFF
	s_cmp_lt_u32 s82, s66                                      // 00000000DC54: BF0A4252
	s_cselect_b32 s20, s36, s60                                // 00000000DC58: 85143C24
	v_readlane_b32 s82, v3, 5                                  // 00000000DC5C: D2890052 00010B03
	s_and_b32 s82, s82, 0xffffff                               // 00000000DC64: 8652FF52 00FFFFFF
	s_cmp_lt_u32 s82, s66                                      // 00000000DC6C: BF0A4252
	s_cselect_b32 s21, s36, s60                                // 00000000DC70: 85153C24
	s_mov_b64 exec, s[20:21]                                   // 00000000DC74: BEFE0114
	global_atomic_add_f32 v6, v180, s[8:9]                     // 00000000DC78: DD348000 0008B406
	global_atomic_add_f32 v6, v184, s[8:9] offset:256          // 00000000DC80: DD348100 0008B806
	s_mov_b64 exec, s[36:37]                                   // 00000000DC88: BEFE0124
	v_mov_b32_e32 v6, v73                                      // 00000000DC8C: 7E0C0349
	s_mov_b64 s[60:61], 0                                      // 00000000DC90: BEBC0180
	v_readlane_b32 s82, v3, 6                                  // 00000000DC94: D2890052 00010D03
	s_and_b32 s82, s82, 0xffffff                               // 00000000DC9C: 8652FF52 00FFFFFF
	s_cmp_lt_u32 s82, s66                                      // 00000000DCA4: BF0A4252
	s_cselect_b32 s20, s36, s60                                // 00000000DCA8: 85143C24
	v_readlane_b32 s82, v3, 7                                  // 00000000DCAC: D2890052 00010F03
	s_and_b32 s82, s82, 0xffffff                               // 00000000DCB4: 8652FF52 00FFFFFF
	s_cmp_lt_u32 s82, s66                                      // 00000000DCBC: BF0A4252
	s_cselect_b32 s21, s36, s60                                // 00000000DCC0: 85153C24
	s_mov_b64 exec, s[20:21]                                   // 00000000DCC4: BEFE0114
	global_atomic_add_f32 v6, v181, s[8:9]                     // 00000000DCC8: DD348000 0008B506
	global_atomic_add_f32 v6, v185, s[8:9] offset:256          // 00000000DCD0: DD348100 0008B906
	s_mov_b64 exec, s[36:37]                                   // 00000000DCD8: BEFE0124
	v_mov_b32_e32 v6, v74                                      // 00000000DCDC: 7E0C034A
	s_mov_b64 s[60:61], 0                                      // 00000000DCE0: BEBC0180
	v_readlane_b32 s82, v3, 8                                  // 00000000DCE4: D2890052 00011103
	s_and_b32 s82, s82, 0xffffff                               // 00000000DCEC: 8652FF52 00FFFFFF
	s_cmp_lt_u32 s82, s66                                      // 00000000DCF4: BF0A4252
	s_cselect_b32 s20, s36, s60                                // 00000000DCF8: 85143C24
	v_readlane_b32 s82, v3, 9                                  // 00000000DCFC: D2890052 00011303
	s_and_b32 s82, s82, 0xffffff                               // 00000000DD04: 8652FF52 00FFFFFF
	s_cmp_lt_u32 s82, s66                                      // 00000000DD0C: BF0A4252
	s_cselect_b32 s21, s36, s60                                // 00000000DD10: 85153C24
	s_mov_b64 exec, s[20:21]                                   // 00000000DD14: BEFE0114
	global_atomic_add_f32 v6, v188, s[8:9]                     // 00000000DD18: DD348000 0008BC06
	global_atomic_add_f32 v6, v192, s[8:9] offset:256          // 00000000DD20: DD348100 0008C006
	s_mov_b64 exec, s[36:37]                                   // 00000000DD28: BEFE0124
	v_mov_b32_e32 v6, v75                                      // 00000000DD2C: 7E0C034B
	s_mov_b64 s[60:61], 0                                      // 00000000DD30: BEBC0180
	v_readlane_b32 s82, v3, 10                                 // 00000000DD34: D2890052 00011503
	s_and_b32 s82, s82, 0xffffff                               // 00000000DD3C: 8652FF52 00FFFFFF
	s_cmp_lt_u32 s82, s66                                      // 00000000DD44: BF0A4252
	s_cselect_b32 s20, s36, s60                                // 00000000DD48: 85143C24
	v_readlane_b32 s82, v3, 11                                 // 00000000DD4C: D2890052 00011703
	s_and_b32 s82, s82, 0xffffff                               // 00000000DD54: 8652FF52 00FFFFFF
	s_cmp_lt_u32 s82, s66                                      // 00000000DD5C: BF0A4252
	s_cselect_b32 s21, s36, s60                                // 00000000DD60: 85153C24
	s_mov_b64 exec, s[20:21]                                   // 00000000DD64: BEFE0114
	global_atomic_add_f32 v6, v189, s[8:9]                     // 00000000DD68: DD348000 0008BD06
	global_atomic_add_f32 v6, v193, s[8:9] offset:256          // 00000000DD70: DD348100 0008C106
	s_mov_b64 exec, s[36:37]                                   // 00000000DD78: BEFE0124
	v_mov_b32_e32 v6, v76                                      // 00000000DD7C: 7E0C034C
	s_mov_b64 s[60:61], 0                                      // 00000000DD80: BEBC0180
	v_readlane_b32 s82, v3, 12                                 // 00000000DD84: D2890052 00011903
	s_and_b32 s82, s82, 0xffffff                               // 00000000DD8C: 8652FF52 00FFFFFF
	s_cmp_lt_u32 s82, s66                                      // 00000000DD94: BF0A4252
	s_cselect_b32 s20, s36, s60                                // 00000000DD98: 85143C24
	v_readlane_b32 s82, v3, 13                                 // 00000000DD9C: D2890052 00011B03
	s_and_b32 s82, s82, 0xffffff                               // 00000000DDA4: 8652FF52 00FFFFFF
	s_cmp_lt_u32 s82, s66                                      // 00000000DDAC: BF0A4252
	s_cselect_b32 s21, s36, s60                                // 00000000DDB0: 85153C24
	s_mov_b64 exec, s[20:21]                                   // 00000000DDB4: BEFE0114
	global_atomic_add_f32 v6, v196, s[8:9]                     // 00000000DDB8: DD348000 0008C406
	global_atomic_add_f32 v6, v200, s[8:9] offset:256          // 00000000DDC0: DD348100 0008C806
	s_mov_b64 exec, s[36:37]                                   // 00000000DDC8: BEFE0124
	v_mov_b32_e32 v6, v77                                      // 00000000DDCC: 7E0C034D
	s_mov_b64 s[60:61], 0                                      // 00000000DDD0: BEBC0180
	v_readlane_b32 s82, v3, 14                                 // 00000000DDD4: D2890052 00011D03
	s_and_b32 s82, s82, 0xffffff                               // 00000000DDDC: 8652FF52 00FFFFFF
	s_cmp_lt_u32 s82, s66                                      // 00000000DDE4: BF0A4252
	s_cselect_b32 s20, s36, s60                                // 00000000DDE8: 85143C24
	v_readlane_b32 s82, v3, 15                                 // 00000000DDEC: D2890052 00011F03
	s_and_b32 s82, s82, 0xffffff                               // 00000000DDF4: 8652FF52 00FFFFFF
	s_cmp_lt_u32 s82, s66                                      // 00000000DDFC: BF0A4252
	s_cselect_b32 s21, s36, s60                                // 00000000DE00: 85153C24
	s_mov_b64 exec, s[20:21]                                   // 00000000DE04: BEFE0114
	global_atomic_add_f32 v6, v197, s[8:9]                     // 00000000DE08: DD348000 0008C506
	global_atomic_add_f32 v6, v201, s[8:9] offset:256          // 00000000DE10: DD348100 0008C906
	s_mov_b64 exec, s[36:37]                                   // 00000000DE18: BEFE0124
	v_mov_b32_e32 v6, v78                                      // 00000000DE1C: 7E0C034E
	s_mov_b64 s[60:61], 0                                      // 00000000DE20: BEBC0180
	v_readlane_b32 s82, v3, 16                                 // 00000000DE24: D2890052 00012103
	s_and_b32 s82, s82, 0xffffff                               // 00000000DE2C: 8652FF52 00FFFFFF
	s_cmp_lt_u32 s82, s66                                      // 00000000DE34: BF0A4252
	s_cselect_b32 s20, s36, s60                                // 00000000DE38: 85143C24
	v_readlane_b32 s82, v3, 17                                 // 00000000DE3C: D2890052 00012303
	s_and_b32 s82, s82, 0xffffff                               // 00000000DE44: 8652FF52 00FFFFFF
	s_cmp_lt_u32 s82, s66                                      // 00000000DE4C: BF0A4252
	s_cselect_b32 s21, s36, s60                                // 00000000DE50: 85153C24
	s_mov_b64 exec, s[20:21]                                   // 00000000DE54: BEFE0114
	global_atomic_add_f32 v6, v204, s[8:9]                     // 00000000DE58: DD348000 0008CC06
	global_atomic_add_f32 v6, v208, s[8:9] offset:256          // 00000000DE60: DD348100 0008D006
	s_mov_b64 exec, s[36:37]                                   // 00000000DE68: BEFE0124
	v_mov_b32_e32 v6, v79                                      // 00000000DE6C: 7E0C034F
	s_mov_b64 s[60:61], 0                                      // 00000000DE70: BEBC0180
	v_readlane_b32 s82, v3, 18                                 // 00000000DE74: D2890052 00012503
	s_and_b32 s82, s82, 0xffffff                               // 00000000DE7C: 8652FF52 00FFFFFF
	s_cmp_lt_u32 s82, s66                                      // 00000000DE84: BF0A4252
	s_cselect_b32 s20, s36, s60                                // 00000000DE88: 85143C24
	v_readlane_b32 s82, v3, 19                                 // 00000000DE8C: D2890052 00012703
	s_and_b32 s82, s82, 0xffffff                               // 00000000DE94: 8652FF52 00FFFFFF
	s_cmp_lt_u32 s82, s66                                      // 00000000DE9C: BF0A4252
	s_cselect_b32 s21, s36, s60                                // 00000000DEA0: 85153C24
	s_mov_b64 exec, s[20:21]                                   // 00000000DEA4: BEFE0114
	global_atomic_add_f32 v6, v205, s[8:9]                     // 00000000DEA8: DD348000 0008CD06
	global_atomic_add_f32 v6, v209, s[8:9] offset:256          // 00000000DEB0: DD348100 0008D106
	s_mov_b64 exec, s[36:37]                                   // 00000000DEB8: BEFE0124
	v_mov_b32_e32 v6, v80                                      // 00000000DEBC: 7E0C0350
	s_mov_b64 s[60:61], 0                                      // 00000000DEC0: BEBC0180
	v_readlane_b32 s82, v3, 20                                 // 00000000DEC4: D2890052 00012903
	s_and_b32 s82, s82, 0xffffff                               // 00000000DECC: 8652FF52 00FFFFFF
	s_cmp_lt_u32 s82, s66                                      // 00000000DED4: BF0A4252
	s_cselect_b32 s20, s36, s60                                // 00000000DED8: 85143C24
	v_readlane_b32 s82, v3, 21                                 // 00000000DEDC: D2890052 00012B03
	s_and_b32 s82, s82, 0xffffff                               // 00000000DEE4: 8652FF52 00FFFFFF
	s_cmp_lt_u32 s82, s66                                      // 00000000DEEC: BF0A4252
	s_cselect_b32 s21, s36, s60                                // 00000000DEF0: 85153C24
	s_mov_b64 exec, s[20:21]                                   // 00000000DEF4: BEFE0114
	global_atomic_add_f32 v6, v212, s[8:9]                     // 00000000DEF8: DD348000 0008D406
	global_atomic_add_f32 v6, v216, s[8:9] offset:256          // 00000000DF00: DD348100 0008D806
	s_mov_b64 exec, s[36:37]                                   // 00000000DF08: BEFE0124
	v_mov_b32_e32 v6, v81                                      // 00000000DF0C: 7E0C0351
	s_mov_b64 s[60:61], 0                                      // 00000000DF10: BEBC0180
	v_readlane_b32 s82, v3, 22                                 // 00000000DF14: D2890052 00012D03
	s_and_b32 s82, s82, 0xffffff                               // 00000000DF1C: 8652FF52 00FFFFFF
	s_cmp_lt_u32 s82, s66                                      // 00000000DF24: BF0A4252
	s_cselect_b32 s20, s36, s60                                // 00000000DF28: 85143C24
	v_readlane_b32 s82, v3, 23                                 // 00000000DF2C: D2890052 00012F03
	s_and_b32 s82, s82, 0xffffff                               // 00000000DF34: 8652FF52 00FFFFFF
	s_cmp_lt_u32 s82, s66                                      // 00000000DF3C: BF0A4252
	s_cselect_b32 s21, s36, s60                                // 00000000DF40: 85153C24
	s_mov_b64 exec, s[20:21]                                   // 00000000DF44: BEFE0114
	global_atomic_add_f32 v6, v213, s[8:9]                     // 00000000DF48: DD348000 0008D506
	global_atomic_add_f32 v6, v217, s[8:9] offset:256          // 00000000DF50: DD348100 0008D906
	s_mov_b64 exec, s[36:37]                                   // 00000000DF58: BEFE0124
	v_mov_b32_e32 v6, v82                                      // 00000000DF5C: 7E0C0352
	s_mov_b64 s[60:61], 0                                      // 00000000DF60: BEBC0180
	v_readlane_b32 s82, v3, 24                                 // 00000000DF64: D2890052 00013103
	s_and_b32 s82, s82, 0xffffff                               // 00000000DF6C: 8652FF52 00FFFFFF
	s_cmp_lt_u32 s82, s66                                      // 00000000DF74: BF0A4252
	s_cselect_b32 s20, s36, s60                                // 00000000DF78: 85143C24
	v_readlane_b32 s82, v3, 25                                 // 00000000DF7C: D2890052 00013303
	s_and_b32 s82, s82, 0xffffff                               // 00000000DF84: 8652FF52 00FFFFFF
	s_cmp_lt_u32 s82, s66                                      // 00000000DF8C: BF0A4252
	s_cselect_b32 s21, s36, s60                                // 00000000DF90: 85153C24
	s_mov_b64 exec, s[20:21]                                   // 00000000DF94: BEFE0114
	global_atomic_add_f32 v6, v220, s[8:9]                     // 00000000DF98: DD348000 0008DC06
	global_atomic_add_f32 v6, v224, s[8:9] offset:256          // 00000000DFA0: DD348100 0008E006
	s_mov_b64 exec, s[36:37]                                   // 00000000DFA8: BEFE0124
	v_mov_b32_e32 v6, v83                                      // 00000000DFAC: 7E0C0353
	s_mov_b64 s[60:61], 0                                      // 00000000DFB0: BEBC0180
	v_readlane_b32 s82, v3, 26                                 // 00000000DFB4: D2890052 00013503
	s_and_b32 s82, s82, 0xffffff                               // 00000000DFBC: 8652FF52 00FFFFFF
	s_cmp_lt_u32 s82, s66                                      // 00000000DFC4: BF0A4252
	s_cselect_b32 s20, s36, s60                                // 00000000DFC8: 85143C24
	v_readlane_b32 s82, v3, 27                                 // 00000000DFCC: D2890052 00013703
	s_and_b32 s82, s82, 0xffffff                               // 00000000DFD4: 8652FF52 00FFFFFF
	s_cmp_lt_u32 s82, s66                                      // 00000000DFDC: BF0A4252
	s_cselect_b32 s21, s36, s60                                // 00000000DFE0: 85153C24
	s_mov_b64 exec, s[20:21]                                   // 00000000DFE4: BEFE0114
	global_atomic_add_f32 v6, v221, s[8:9]                     // 00000000DFE8: DD348000 0008DD06
	global_atomic_add_f32 v6, v225, s[8:9] offset:256          // 00000000DFF0: DD348100 0008E106
	s_mov_b64 exec, s[36:37]                                   // 00000000DFF8: BEFE0124
	v_mov_b32_e32 v6, v84                                      // 00000000DFFC: 7E0C0354
	s_mov_b64 s[60:61], 0                                      // 00000000E000: BEBC0180
	v_readlane_b32 s82, v3, 28                                 // 00000000E004: D2890052 00013903
	s_and_b32 s82, s82, 0xffffff                               // 00000000E00C: 8652FF52 00FFFFFF
	s_cmp_lt_u32 s82, s66                                      // 00000000E014: BF0A4252
	s_cselect_b32 s20, s36, s60                                // 00000000E018: 85143C24
	v_readlane_b32 s82, v3, 29                                 // 00000000E01C: D2890052 00013B03
	s_and_b32 s82, s82, 0xffffff                               // 00000000E024: 8652FF52 00FFFFFF
	s_cmp_lt_u32 s82, s66                                      // 00000000E02C: BF0A4252
	s_cselect_b32 s21, s36, s60                                // 00000000E030: 85153C24
	s_mov_b64 exec, s[20:21]                                   // 00000000E034: BEFE0114
	global_atomic_add_f32 v6, v228, s[8:9]                     // 00000000E038: DD348000 0008E406
	global_atomic_add_f32 v6, v232, s[8:9] offset:256          // 00000000E040: DD348100 0008E806
	s_mov_b64 exec, s[36:37]                                   // 00000000E048: BEFE0124
	v_mov_b32_e32 v6, v85                                      // 00000000E04C: 7E0C0355
	s_mov_b64 s[60:61], 0                                      // 00000000E050: BEBC0180
	v_readlane_b32 s82, v3, 30                                 // 00000000E054: D2890052 00013D03
	s_and_b32 s82, s82, 0xffffff                               // 00000000E05C: 8652FF52 00FFFFFF
	s_cmp_lt_u32 s82, s66                                      // 00000000E064: BF0A4252
	s_cselect_b32 s20, s36, s60                                // 00000000E068: 85143C24
	v_readlane_b32 s82, v3, 31                                 // 00000000E06C: D2890052 00013F03
	s_and_b32 s82, s82, 0xffffff                               // 00000000E074: 8652FF52 00FFFFFF
	s_cmp_lt_u32 s82, s66                                      // 00000000E07C: BF0A4252
	s_cselect_b32 s21, s36, s60                                // 00000000E080: 85153C24
	s_mov_b64 exec, s[20:21]                                   // 00000000E084: BEFE0114
	global_atomic_add_f32 v6, v229, s[8:9]                     // 00000000E088: DD348000 0008E506
	global_atomic_add_f32 v6, v233, s[8:9] offset:256          // 00000000E090: DD348100 0008E906
	s_mov_b64 exec, s[36:37]                                   // 00000000E098: BEFE0124
	v_mov_b32_e32 v6, v86                                      // 00000000E09C: 7E0C0356
	s_mov_b64 s[60:61], 0                                      // 00000000E0A0: BEBC0180
	v_readlane_b32 s82, v3, 32                                 // 00000000E0A4: D2890052 00014103
	s_and_b32 s82, s82, 0xffffff                               // 00000000E0AC: 8652FF52 00FFFFFF
	s_cmp_lt_u32 s82, s66                                      // 00000000E0B4: BF0A4252
	s_cselect_b32 s20, s36, s60                                // 00000000E0B8: 85143C24
	v_readlane_b32 s82, v3, 33                                 // 00000000E0BC: D2890052 00014303
	s_and_b32 s82, s82, 0xffffff                               // 00000000E0C4: 8652FF52 00FFFFFF
	s_cmp_lt_u32 s82, s66                                      // 00000000E0CC: BF0A4252
	s_cselect_b32 s21, s36, s60                                // 00000000E0D0: 85153C24
	s_mov_b64 exec, s[20:21]                                   // 00000000E0D4: BEFE0114
	global_atomic_add_f32 v6, v236, s[8:9]                     // 00000000E0D8: DD348000 0008EC06
	global_atomic_add_f32 v6, v240, s[8:9] offset:256          // 00000000E0E0: DD348100 0008F006
	s_mov_b64 exec, s[36:37]                                   // 00000000E0E8: BEFE0124
	v_mov_b32_e32 v6, v87                                      // 00000000E0EC: 7E0C0357
	s_mov_b64 s[60:61], 0                                      // 00000000E0F0: BEBC0180
	v_readlane_b32 s82, v3, 34                                 // 00000000E0F4: D2890052 00014503
	s_and_b32 s82, s82, 0xffffff                               // 00000000E0FC: 8652FF52 00FFFFFF
	s_cmp_lt_u32 s82, s66                                      // 00000000E104: BF0A4252
	s_cselect_b32 s20, s36, s60                                // 00000000E108: 85143C24
	v_readlane_b32 s82, v3, 35                                 // 00000000E10C: D2890052 00014703
	s_and_b32 s82, s82, 0xffffff                               // 00000000E114: 8652FF52 00FFFFFF
	s_cmp_lt_u32 s82, s66                                      // 00000000E11C: BF0A4252
	s_cselect_b32 s21, s36, s60                                // 00000000E120: 85153C24
	s_mov_b64 exec, s[20:21]                                   // 00000000E124: BEFE0114
	global_atomic_add_f32 v6, v237, s[8:9]                     // 00000000E128: DD348000 0008ED06
	global_atomic_add_f32 v6, v241, s[8:9] offset:256          // 00000000E130: DD348100 0008F106
	s_mov_b64 exec, s[36:37]                                   // 00000000E138: BEFE0124
	v_mov_b32_e32 v6, v88                                      // 00000000E13C: 7E0C0358
	s_mov_b64 s[60:61], 0                                      // 00000000E140: BEBC0180
	v_readlane_b32 s82, v3, 36                                 // 00000000E144: D2890052 00014903
	s_and_b32 s82, s82, 0xffffff                               // 00000000E14C: 8652FF52 00FFFFFF
	s_cmp_lt_u32 s82, s66                                      // 00000000E154: BF0A4252
	s_cselect_b32 s20, s36, s60                                // 00000000E158: 85143C24
	v_readlane_b32 s82, v3, 37                                 // 00000000E15C: D2890052 00014B03
	s_and_b32 s82, s82, 0xffffff                               // 00000000E164: 8652FF52 00FFFFFF
	s_cmp_lt_u32 s82, s66                                      // 00000000E16C: BF0A4252
	s_cselect_b32 s21, s36, s60                                // 00000000E170: 85153C24
	s_mov_b64 exec, s[20:21]                                   // 00000000E174: BEFE0114
	global_atomic_add_f32 v6, v244, s[8:9]                     // 00000000E178: DD348000 0008F406
	global_atomic_add_f32 v6, v248, s[8:9] offset:256          // 00000000E180: DD348100 0008F806
	s_mov_b64 exec, s[36:37]                                   // 00000000E188: BEFE0124
	v_mov_b32_e32 v6, v89                                      // 00000000E18C: 7E0C0359
	s_mov_b64 s[60:61], 0                                      // 00000000E190: BEBC0180
	v_readlane_b32 s82, v3, 38                                 // 00000000E194: D2890052 00014D03
	s_and_b32 s82, s82, 0xffffff                               // 00000000E19C: 8652FF52 00FFFFFF
	s_cmp_lt_u32 s82, s66                                      // 00000000E1A4: BF0A4252
	s_cselect_b32 s20, s36, s60                                // 00000000E1A8: 85143C24
	v_readlane_b32 s82, v3, 39                                 // 00000000E1AC: D2890052 00014F03
	s_and_b32 s82, s82, 0xffffff                               // 00000000E1B4: 8652FF52 00FFFFFF
	s_cmp_lt_u32 s82, s66                                      // 00000000E1BC: BF0A4252
	s_cselect_b32 s21, s36, s60                                // 00000000E1C0: 85153C24
	s_mov_b64 exec, s[20:21]                                   // 00000000E1C4: BEFE0114
	global_atomic_add_f32 v6, v245, s[8:9]                     // 00000000E1C8: DD348000 0008F506
	global_atomic_add_f32 v6, v249, s[8:9] offset:256          // 00000000E1D0: DD348100 0008F906
	s_mov_b64 exec, s[36:37]                                   // 00000000E1D8: BEFE0124
	ds_write_b64 v20, v[174:175]                               // 00000000E1DC: D89A0000 0000AE14
	ds_write_b64 v20, v[178:179] offset:4352                   // 00000000E1E4: D89A1100 0000B214
	ds_write_b64 v20, v[182:183] offset:8704                   // 00000000E1EC: D89A2200 0000B614
	ds_write_b64 v20, v[186:187] offset:13056                  // 00000000E1F4: D89A3300 0000BA14
	ds_write_b64 v20, v[190:191] offset:17408                  // 00000000E1FC: D89A4400 0000BE14
	ds_write_b64 v20, v[194:195] offset:21760                  // 00000000E204: D89A5500 0000C214
	ds_write_b64 v20, v[198:199] offset:26112                  // 00000000E20C: D89A6600 0000C614
	ds_write_b64 v20, v[202:203] offset:30464                  // 00000000E214: D89A7700 0000CA14
	ds_write_b64 v20, v[206:207] offset:34816                  // 00000000E21C: D89A8800 0000CE14
	ds_write_b64 v20, v[210:211] offset:39168                  // 00000000E224: D89A9900 0000D214
	ds_write_b64 v20, v[214:215] offset:2176                   // 00000000E22C: D89A0880 0000D614
	ds_write_b64 v20, v[218:219] offset:6528                   // 00000000E234: D89A1980 0000DA14
	ds_write_b64 v20, v[222:223] offset:10880                  // 00000000E23C: D89A2A80 0000DE14
	ds_write_b64 v20, v[226:227] offset:15232                  // 00000000E244: D89A3B80 0000E214
	ds_write_b64 v20, v[230:231] offset:19584                  // 00000000E24C: D89A4C80 0000E614
	ds_write_b64 v20, v[234:235] offset:23936                  // 00000000E254: D89A5D80 0000EA14
	ds_write_b64 v20, v[238:239] offset:28288                  // 00000000E25C: D89A6E80 0000EE14
	ds_write_b64 v20, v[242:243] offset:32640                  // 00000000E264: D89A7F80 0000F214
	ds_write_b64 v20, v[246:247] offset:36992                  // 00000000E26C: D89A9080 0000F614
	ds_write_b64 v20, v[250:251] offset:41344                  // 00000000E274: D89AA180 0000FA14
	s_waitcnt lgkmcnt(0)                                       // 00000000E27C: BF8CC07F
	s_barrier                                                  // 00000000E280: BF8A0000
	ds_read_b32 v174, v21                                      // 00000000E284: D86C0000 AE000015
	ds_read_b32 v175, v21 offset:64                            // 00000000E28C: D86C0040 AF000015
	ds_read_b32 v178, v21 offset:2176                          // 00000000E294: D86C0880 B2000015
	ds_read_b32 v179, v21 offset:2240                          // 00000000E29C: D86C08C0 B3000015
	ds_read_b32 v182, v21 offset:4352                          // 00000000E2A4: D86C1100 B6000015
	ds_read_b32 v183, v21 offset:4416                          // 00000000E2AC: D86C1140 B7000015
	ds_read_b32 v186, v21 offset:6528                          // 00000000E2B4: D86C1980 BA000015
	ds_read_b32 v187, v21 offset:6592                          // 00000000E2BC: D86C19C0 BB000015
	ds_read_b32 v190, v21 offset:8704                          // 00000000E2C4: D86C2200 BE000015
	ds_read_b32 v191, v21 offset:8768                          // 00000000E2CC: D86C2240 BF000015
	ds_read_b32 v194, v21 offset:10880                         // 00000000E2D4: D86C2A80 C2000015
	ds_read_b32 v195, v21 offset:10944                         // 00000000E2DC: D86C2AC0 C3000015
	ds_read_b32 v198, v21 offset:13056                         // 00000000E2E4: D86C3300 C6000015
	ds_read_b32 v199, v21 offset:13120                         // 00000000E2EC: D86C3340 C7000015
	ds_read_b32 v202, v21 offset:15232                         // 00000000E2F4: D86C3B80 CA000015
	ds_read_b32 v203, v21 offset:15296                         // 00000000E2FC: D86C3BC0 CB000015
	ds_read_b32 v206, v21 offset:17408                         // 00000000E304: D86C4400 CE000015
	ds_read_b32 v207, v21 offset:17472                         // 00000000E30C: D86C4440 CF000015
	ds_read_b32 v210, v21 offset:19584                         // 00000000E314: D86C4C80 D2000015
	ds_read_b32 v211, v21 offset:19648                         // 00000000E31C: D86C4CC0 D3000015
	ds_read_b32 v214, v21 offset:21760                         // 00000000E324: D86C5500 D6000015
	ds_read_b32 v215, v21 offset:21824                         // 00000000E32C: D86C5540 D7000015
	ds_read_b32 v218, v21 offset:23936                         // 00000000E334: D86C5D80 DA000015
	ds_read_b32 v219, v21 offset:24000                         // 00000000E33C: D86C5DC0 DB000015
	ds_read_b32 v222, v21 offset:26112                         // 00000000E344: D86C6600 DE000015
	ds_read_b32 v223, v21 offset:26176                         // 00000000E34C: D86C6640 DF000015
	ds_read_b32 v226, v21 offset:28288                         // 00000000E354: D86C6E80 E2000015
	ds_read_b32 v227, v21 offset:28352                         // 00000000E35C: D86C6EC0 E3000015
	ds_read_b32 v230, v21 offset:30464                         // 00000000E364: D86C7700 E6000015
	ds_read_b32 v231, v21 offset:30528                         // 00000000E36C: D86C7740 E7000015
	ds_read_b32 v234, v21 offset:32640                         // 00000000E374: D86C7F80 EA000015
	ds_read_b32 v235, v21 offset:32704                         // 00000000E37C: D86C7FC0 EB000015
	ds_read_b32 v238, v21 offset:34816                         // 00000000E384: D86C8800 EE000015
	ds_read_b32 v239, v21 offset:34880                         // 00000000E38C: D86C8840 EF000015
	ds_read_b32 v242, v21 offset:36992                         // 00000000E394: D86C9080 F2000015
	ds_read_b32 v243, v21 offset:37056                         // 00000000E39C: D86C90C0 F3000015
	ds_read_b32 v246, v21 offset:39168                         // 00000000E3A4: D86C9900 F6000015
	ds_read_b32 v247, v21 offset:39232                         // 00000000E3AC: D86C9940 F7000015
	ds_read_b32 v250, v21 offset:41344                         // 00000000E3B4: D86CA180 FA000015
	ds_read_b32 v251, v21 offset:41408                         // 00000000E3BC: D86CA1C0 FB000015
	s_waitcnt lgkmcnt(0)                                       // 00000000E3C4: BF8CC07F
	v_mov_b32_e32 v7, 0                                        // 00000000E3C8: 7E0E0280
	s_mov_b64 exec, s[36:37]                                   // 00000000E3CC: BEFE0124
	v_mov_b32_e32 v6, v70                                      // 00000000E3D0: 7E0C0346
	s_mov_b64 s[60:61], 0                                      // 00000000E3D4: BEBC0180
	v_readlane_b32 s82, v3, 0                                  // 00000000E3D8: D2890052 00010103
	s_and_b32 s82, s82, 0xffffff                               // 00000000E3E0: 8652FF52 00FFFFFF
	s_cmp_lt_u32 s82, s66                                      // 00000000E3E8: BF0A4252
	s_cselect_b32 s20, s36, s60                                // 00000000E3EC: 85143C24
	v_readlane_b32 s82, v3, 1                                  // 00000000E3F0: D2890052 00010303
	s_and_b32 s82, s82, 0xffffff                               // 00000000E3F8: 8652FF52 00FFFFFF
	s_cmp_lt_u32 s82, s66                                      // 00000000E400: BF0A4252
	s_cselect_b32 s21, s36, s60                                // 00000000E404: 85153C24
	s_mov_b64 exec, s[20:21]                                   // 00000000E408: BEFE0114
	global_atomic_add_f32 v6, v174, s[8:9] offset:8            // 00000000E40C: DD348008 0008AE06
	global_atomic_add_f32 v6, v178, s[8:9] offset:264          // 00000000E414: DD348108 0008B206
	s_mov_b64 exec, s[36:37]                                   // 00000000E41C: BEFE0124
	v_mov_b32_e32 v6, v71                                      // 00000000E420: 7E0C0347
	s_mov_b64 s[60:61], 0                                      // 00000000E424: BEBC0180
	v_readlane_b32 s82, v3, 2                                  // 00000000E428: D2890052 00010503
	s_and_b32 s82, s82, 0xffffff                               // 00000000E430: 8652FF52 00FFFFFF
	s_cmp_lt_u32 s82, s66                                      // 00000000E438: BF0A4252
	s_cselect_b32 s20, s36, s60                                // 00000000E43C: 85143C24
	v_readlane_b32 s82, v3, 3                                  // 00000000E440: D2890052 00010703
	s_and_b32 s82, s82, 0xffffff                               // 00000000E448: 8652FF52 00FFFFFF
	s_cmp_lt_u32 s82, s66                                      // 00000000E450: BF0A4252
	s_cselect_b32 s21, s36, s60                                // 00000000E454: 85153C24
	s_mov_b64 exec, s[20:21]                                   // 00000000E458: BEFE0114
	global_atomic_add_f32 v6, v175, s[8:9] offset:8            // 00000000E45C: DD348008 0008AF06
	global_atomic_add_f32 v6, v179, s[8:9] offset:264          // 00000000E464: DD348108 0008B306
	s_mov_b64 exec, s[36:37]                                   // 00000000E46C: BEFE0124
	v_mov_b32_e32 v6, v72                                      // 00000000E470: 7E0C0348
	s_mov_b64 s[60:61], 0                                      // 00000000E474: BEBC0180
	v_readlane_b32 s82, v3, 4                                  // 00000000E478: D2890052 00010903
	s_and_b32 s82, s82, 0xffffff                               // 00000000E480: 8652FF52 00FFFFFF
	s_cmp_lt_u32 s82, s66                                      // 00000000E488: BF0A4252
	s_cselect_b32 s20, s36, s60                                // 00000000E48C: 85143C24
	v_readlane_b32 s82, v3, 5                                  // 00000000E490: D2890052 00010B03
	s_and_b32 s82, s82, 0xffffff                               // 00000000E498: 8652FF52 00FFFFFF
	s_cmp_lt_u32 s82, s66                                      // 00000000E4A0: BF0A4252
	s_cselect_b32 s21, s36, s60                                // 00000000E4A4: 85153C24
	s_mov_b64 exec, s[20:21]                                   // 00000000E4A8: BEFE0114
	global_atomic_add_f32 v6, v182, s[8:9] offset:8            // 00000000E4AC: DD348008 0008B606
	global_atomic_add_f32 v6, v186, s[8:9] offset:264          // 00000000E4B4: DD348108 0008BA06
	s_mov_b64 exec, s[36:37]                                   // 00000000E4BC: BEFE0124
	v_mov_b32_e32 v6, v73                                      // 00000000E4C0: 7E0C0349
	s_mov_b64 s[60:61], 0                                      // 00000000E4C4: BEBC0180
	v_readlane_b32 s82, v3, 6                                  // 00000000E4C8: D2890052 00010D03
	s_and_b32 s82, s82, 0xffffff                               // 00000000E4D0: 8652FF52 00FFFFFF
	s_cmp_lt_u32 s82, s66                                      // 00000000E4D8: BF0A4252
	s_cselect_b32 s20, s36, s60                                // 00000000E4DC: 85143C24
	v_readlane_b32 s82, v3, 7                                  // 00000000E4E0: D2890052 00010F03
	s_and_b32 s82, s82, 0xffffff                               // 00000000E4E8: 8652FF52 00FFFFFF
	s_cmp_lt_u32 s82, s66                                      // 00000000E4F0: BF0A4252
	s_cselect_b32 s21, s36, s60                                // 00000000E4F4: 85153C24
	s_mov_b64 exec, s[20:21]                                   // 00000000E4F8: BEFE0114
	global_atomic_add_f32 v6, v183, s[8:9] offset:8            // 00000000E4FC: DD348008 0008B706
	global_atomic_add_f32 v6, v187, s[8:9] offset:264          // 00000000E504: DD348108 0008BB06
	s_mov_b64 exec, s[36:37]                                   // 00000000E50C: BEFE0124
	v_mov_b32_e32 v6, v74                                      // 00000000E510: 7E0C034A
	s_mov_b64 s[60:61], 0                                      // 00000000E514: BEBC0180
	v_readlane_b32 s82, v3, 8                                  // 00000000E518: D2890052 00011103
	s_and_b32 s82, s82, 0xffffff                               // 00000000E520: 8652FF52 00FFFFFF
	s_cmp_lt_u32 s82, s66                                      // 00000000E528: BF0A4252
	s_cselect_b32 s20, s36, s60                                // 00000000E52C: 85143C24
	v_readlane_b32 s82, v3, 9                                  // 00000000E530: D2890052 00011303
	s_and_b32 s82, s82, 0xffffff                               // 00000000E538: 8652FF52 00FFFFFF
	s_cmp_lt_u32 s82, s66                                      // 00000000E540: BF0A4252
	s_cselect_b32 s21, s36, s60                                // 00000000E544: 85153C24
	s_mov_b64 exec, s[20:21]                                   // 00000000E548: BEFE0114
	global_atomic_add_f32 v6, v190, s[8:9] offset:8            // 00000000E54C: DD348008 0008BE06
	global_atomic_add_f32 v6, v194, s[8:9] offset:264          // 00000000E554: DD348108 0008C206
	s_mov_b64 exec, s[36:37]                                   // 00000000E55C: BEFE0124
	v_mov_b32_e32 v6, v75                                      // 00000000E560: 7E0C034B
	s_mov_b64 s[60:61], 0                                      // 00000000E564: BEBC0180
	v_readlane_b32 s82, v3, 10                                 // 00000000E568: D2890052 00011503
	s_and_b32 s82, s82, 0xffffff                               // 00000000E570: 8652FF52 00FFFFFF
	s_cmp_lt_u32 s82, s66                                      // 00000000E578: BF0A4252
	s_cselect_b32 s20, s36, s60                                // 00000000E57C: 85143C24
	v_readlane_b32 s82, v3, 11                                 // 00000000E580: D2890052 00011703
	s_and_b32 s82, s82, 0xffffff                               // 00000000E588: 8652FF52 00FFFFFF
	s_cmp_lt_u32 s82, s66                                      // 00000000E590: BF0A4252
	s_cselect_b32 s21, s36, s60                                // 00000000E594: 85153C24
	s_mov_b64 exec, s[20:21]                                   // 00000000E598: BEFE0114
	global_atomic_add_f32 v6, v191, s[8:9] offset:8            // 00000000E59C: DD348008 0008BF06
	global_atomic_add_f32 v6, v195, s[8:9] offset:264          // 00000000E5A4: DD348108 0008C306
	s_mov_b64 exec, s[36:37]                                   // 00000000E5AC: BEFE0124
	v_mov_b32_e32 v6, v76                                      // 00000000E5B0: 7E0C034C
	s_mov_b64 s[60:61], 0                                      // 00000000E5B4: BEBC0180
	v_readlane_b32 s82, v3, 12                                 // 00000000E5B8: D2890052 00011903
	s_and_b32 s82, s82, 0xffffff                               // 00000000E5C0: 8652FF52 00FFFFFF
	s_cmp_lt_u32 s82, s66                                      // 00000000E5C8: BF0A4252
	s_cselect_b32 s20, s36, s60                                // 00000000E5CC: 85143C24
	v_readlane_b32 s82, v3, 13                                 // 00000000E5D0: D2890052 00011B03
	s_and_b32 s82, s82, 0xffffff                               // 00000000E5D8: 8652FF52 00FFFFFF
	s_cmp_lt_u32 s82, s66                                      // 00000000E5E0: BF0A4252
	s_cselect_b32 s21, s36, s60                                // 00000000E5E4: 85153C24
	s_mov_b64 exec, s[20:21]                                   // 00000000E5E8: BEFE0114
	global_atomic_add_f32 v6, v198, s[8:9] offset:8            // 00000000E5EC: DD348008 0008C606
	global_atomic_add_f32 v6, v202, s[8:9] offset:264          // 00000000E5F4: DD348108 0008CA06
	s_mov_b64 exec, s[36:37]                                   // 00000000E5FC: BEFE0124
	v_mov_b32_e32 v6, v77                                      // 00000000E600: 7E0C034D
	s_mov_b64 s[60:61], 0                                      // 00000000E604: BEBC0180
	v_readlane_b32 s82, v3, 14                                 // 00000000E608: D2890052 00011D03
	s_and_b32 s82, s82, 0xffffff                               // 00000000E610: 8652FF52 00FFFFFF
	s_cmp_lt_u32 s82, s66                                      // 00000000E618: BF0A4252
	s_cselect_b32 s20, s36, s60                                // 00000000E61C: 85143C24
	v_readlane_b32 s82, v3, 15                                 // 00000000E620: D2890052 00011F03
	s_and_b32 s82, s82, 0xffffff                               // 00000000E628: 8652FF52 00FFFFFF
	s_cmp_lt_u32 s82, s66                                      // 00000000E630: BF0A4252
	s_cselect_b32 s21, s36, s60                                // 00000000E634: 85153C24
	s_mov_b64 exec, s[20:21]                                   // 00000000E638: BEFE0114
	global_atomic_add_f32 v6, v199, s[8:9] offset:8            // 00000000E63C: DD348008 0008C706
	global_atomic_add_f32 v6, v203, s[8:9] offset:264          // 00000000E644: DD348108 0008CB06
	s_mov_b64 exec, s[36:37]                                   // 00000000E64C: BEFE0124
	v_mov_b32_e32 v6, v78                                      // 00000000E650: 7E0C034E
	s_mov_b64 s[60:61], 0                                      // 00000000E654: BEBC0180
	v_readlane_b32 s82, v3, 16                                 // 00000000E658: D2890052 00012103
	s_and_b32 s82, s82, 0xffffff                               // 00000000E660: 8652FF52 00FFFFFF
	s_cmp_lt_u32 s82, s66                                      // 00000000E668: BF0A4252
	s_cselect_b32 s20, s36, s60                                // 00000000E66C: 85143C24
	v_readlane_b32 s82, v3, 17                                 // 00000000E670: D2890052 00012303
	s_and_b32 s82, s82, 0xffffff                               // 00000000E678: 8652FF52 00FFFFFF
	s_cmp_lt_u32 s82, s66                                      // 00000000E680: BF0A4252
	s_cselect_b32 s21, s36, s60                                // 00000000E684: 85153C24
	s_mov_b64 exec, s[20:21]                                   // 00000000E688: BEFE0114
	global_atomic_add_f32 v6, v206, s[8:9] offset:8            // 00000000E68C: DD348008 0008CE06
	global_atomic_add_f32 v6, v210, s[8:9] offset:264          // 00000000E694: DD348108 0008D206
	s_mov_b64 exec, s[36:37]                                   // 00000000E69C: BEFE0124
	v_mov_b32_e32 v6, v79                                      // 00000000E6A0: 7E0C034F
	s_mov_b64 s[60:61], 0                                      // 00000000E6A4: BEBC0180
	v_readlane_b32 s82, v3, 18                                 // 00000000E6A8: D2890052 00012503
	s_and_b32 s82, s82, 0xffffff                               // 00000000E6B0: 8652FF52 00FFFFFF
	s_cmp_lt_u32 s82, s66                                      // 00000000E6B8: BF0A4252
	s_cselect_b32 s20, s36, s60                                // 00000000E6BC: 85143C24
	v_readlane_b32 s82, v3, 19                                 // 00000000E6C0: D2890052 00012703
	s_and_b32 s82, s82, 0xffffff                               // 00000000E6C8: 8652FF52 00FFFFFF
	s_cmp_lt_u32 s82, s66                                      // 00000000E6D0: BF0A4252
	s_cselect_b32 s21, s36, s60                                // 00000000E6D4: 85153C24
	s_mov_b64 exec, s[20:21]                                   // 00000000E6D8: BEFE0114
	global_atomic_add_f32 v6, v207, s[8:9] offset:8            // 00000000E6DC: DD348008 0008CF06
	global_atomic_add_f32 v6, v211, s[8:9] offset:264          // 00000000E6E4: DD348108 0008D306
	s_mov_b64 exec, s[36:37]                                   // 00000000E6EC: BEFE0124
	v_mov_b32_e32 v6, v80                                      // 00000000E6F0: 7E0C0350
	s_mov_b64 s[60:61], 0                                      // 00000000E6F4: BEBC0180
	v_readlane_b32 s82, v3, 20                                 // 00000000E6F8: D2890052 00012903
	s_and_b32 s82, s82, 0xffffff                               // 00000000E700: 8652FF52 00FFFFFF
	s_cmp_lt_u32 s82, s66                                      // 00000000E708: BF0A4252
	s_cselect_b32 s20, s36, s60                                // 00000000E70C: 85143C24
	v_readlane_b32 s82, v3, 21                                 // 00000000E710: D2890052 00012B03
	s_and_b32 s82, s82, 0xffffff                               // 00000000E718: 8652FF52 00FFFFFF
	s_cmp_lt_u32 s82, s66                                      // 00000000E720: BF0A4252
	s_cselect_b32 s21, s36, s60                                // 00000000E724: 85153C24
	s_mov_b64 exec, s[20:21]                                   // 00000000E728: BEFE0114
	global_atomic_add_f32 v6, v214, s[8:9] offset:8            // 00000000E72C: DD348008 0008D606
	global_atomic_add_f32 v6, v218, s[8:9] offset:264          // 00000000E734: DD348108 0008DA06
	s_mov_b64 exec, s[36:37]                                   // 00000000E73C: BEFE0124
	v_mov_b32_e32 v6, v81                                      // 00000000E740: 7E0C0351
	s_mov_b64 s[60:61], 0                                      // 00000000E744: BEBC0180
	v_readlane_b32 s82, v3, 22                                 // 00000000E748: D2890052 00012D03
	s_and_b32 s82, s82, 0xffffff                               // 00000000E750: 8652FF52 00FFFFFF
	s_cmp_lt_u32 s82, s66                                      // 00000000E758: BF0A4252
	s_cselect_b32 s20, s36, s60                                // 00000000E75C: 85143C24
	v_readlane_b32 s82, v3, 23                                 // 00000000E760: D2890052 00012F03
	s_and_b32 s82, s82, 0xffffff                               // 00000000E768: 8652FF52 00FFFFFF
	s_cmp_lt_u32 s82, s66                                      // 00000000E770: BF0A4252
	s_cselect_b32 s21, s36, s60                                // 00000000E774: 85153C24
	s_mov_b64 exec, s[20:21]                                   // 00000000E778: BEFE0114
	global_atomic_add_f32 v6, v215, s[8:9] offset:8            // 00000000E77C: DD348008 0008D706
	global_atomic_add_f32 v6, v219, s[8:9] offset:264          // 00000000E784: DD348108 0008DB06
	s_mov_b64 exec, s[36:37]                                   // 00000000E78C: BEFE0124
	v_mov_b32_e32 v6, v82                                      // 00000000E790: 7E0C0352
	s_mov_b64 s[60:61], 0                                      // 00000000E794: BEBC0180
	v_readlane_b32 s82, v3, 24                                 // 00000000E798: D2890052 00013103
	s_and_b32 s82, s82, 0xffffff                               // 00000000E7A0: 8652FF52 00FFFFFF
	s_cmp_lt_u32 s82, s66                                      // 00000000E7A8: BF0A4252
	s_cselect_b32 s20, s36, s60                                // 00000000E7AC: 85143C24
	v_readlane_b32 s82, v3, 25                                 // 00000000E7B0: D2890052 00013303
	s_and_b32 s82, s82, 0xffffff                               // 00000000E7B8: 8652FF52 00FFFFFF
	s_cmp_lt_u32 s82, s66                                      // 00000000E7C0: BF0A4252
	s_cselect_b32 s21, s36, s60                                // 00000000E7C4: 85153C24
	s_mov_b64 exec, s[20:21]                                   // 00000000E7C8: BEFE0114
	global_atomic_add_f32 v6, v222, s[8:9] offset:8            // 00000000E7CC: DD348008 0008DE06
	global_atomic_add_f32 v6, v226, s[8:9] offset:264          // 00000000E7D4: DD348108 0008E206
	s_mov_b64 exec, s[36:37]                                   // 00000000E7DC: BEFE0124
	v_mov_b32_e32 v6, v83                                      // 00000000E7E0: 7E0C0353
	s_mov_b64 s[60:61], 0                                      // 00000000E7E4: BEBC0180
	v_readlane_b32 s82, v3, 26                                 // 00000000E7E8: D2890052 00013503
	s_and_b32 s82, s82, 0xffffff                               // 00000000E7F0: 8652FF52 00FFFFFF
	s_cmp_lt_u32 s82, s66                                      // 00000000E7F8: BF0A4252
	s_cselect_b32 s20, s36, s60                                // 00000000E7FC: 85143C24
	v_readlane_b32 s82, v3, 27                                 // 00000000E800: D2890052 00013703
	s_and_b32 s82, s82, 0xffffff                               // 00000000E808: 8652FF52 00FFFFFF
	s_cmp_lt_u32 s82, s66                                      // 00000000E810: BF0A4252
	s_cselect_b32 s21, s36, s60                                // 00000000E814: 85153C24
	s_mov_b64 exec, s[20:21]                                   // 00000000E818: BEFE0114
	global_atomic_add_f32 v6, v223, s[8:9] offset:8            // 00000000E81C: DD348008 0008DF06
	global_atomic_add_f32 v6, v227, s[8:9] offset:264          // 00000000E824: DD348108 0008E306
	s_mov_b64 exec, s[36:37]                                   // 00000000E82C: BEFE0124
	v_mov_b32_e32 v6, v84                                      // 00000000E830: 7E0C0354
	s_mov_b64 s[60:61], 0                                      // 00000000E834: BEBC0180
	v_readlane_b32 s82, v3, 28                                 // 00000000E838: D2890052 00013903
	s_and_b32 s82, s82, 0xffffff                               // 00000000E840: 8652FF52 00FFFFFF
	s_cmp_lt_u32 s82, s66                                      // 00000000E848: BF0A4252
	s_cselect_b32 s20, s36, s60                                // 00000000E84C: 85143C24
	v_readlane_b32 s82, v3, 29                                 // 00000000E850: D2890052 00013B03
	s_and_b32 s82, s82, 0xffffff                               // 00000000E858: 8652FF52 00FFFFFF
	s_cmp_lt_u32 s82, s66                                      // 00000000E860: BF0A4252
	s_cselect_b32 s21, s36, s60                                // 00000000E864: 85153C24
	s_mov_b64 exec, s[20:21]                                   // 00000000E868: BEFE0114
	global_atomic_add_f32 v6, v230, s[8:9] offset:8            // 00000000E86C: DD348008 0008E606
	global_atomic_add_f32 v6, v234, s[8:9] offset:264          // 00000000E874: DD348108 0008EA06
	s_mov_b64 exec, s[36:37]                                   // 00000000E87C: BEFE0124
	v_mov_b32_e32 v6, v85                                      // 00000000E880: 7E0C0355
	s_mov_b64 s[60:61], 0                                      // 00000000E884: BEBC0180
	v_readlane_b32 s82, v3, 30                                 // 00000000E888: D2890052 00013D03
	s_and_b32 s82, s82, 0xffffff                               // 00000000E890: 8652FF52 00FFFFFF
	s_cmp_lt_u32 s82, s66                                      // 00000000E898: BF0A4252
	s_cselect_b32 s20, s36, s60                                // 00000000E89C: 85143C24
	v_readlane_b32 s82, v3, 31                                 // 00000000E8A0: D2890052 00013F03
	s_and_b32 s82, s82, 0xffffff                               // 00000000E8A8: 8652FF52 00FFFFFF
	s_cmp_lt_u32 s82, s66                                      // 00000000E8B0: BF0A4252
	s_cselect_b32 s21, s36, s60                                // 00000000E8B4: 85153C24
	s_mov_b64 exec, s[20:21]                                   // 00000000E8B8: BEFE0114
	global_atomic_add_f32 v6, v231, s[8:9] offset:8            // 00000000E8BC: DD348008 0008E706
	global_atomic_add_f32 v6, v235, s[8:9] offset:264          // 00000000E8C4: DD348108 0008EB06
	s_mov_b64 exec, s[36:37]                                   // 00000000E8CC: BEFE0124
	v_mov_b32_e32 v6, v86                                      // 00000000E8D0: 7E0C0356
	s_mov_b64 s[60:61], 0                                      // 00000000E8D4: BEBC0180
	v_readlane_b32 s82, v3, 32                                 // 00000000E8D8: D2890052 00014103
	s_and_b32 s82, s82, 0xffffff                               // 00000000E8E0: 8652FF52 00FFFFFF
	s_cmp_lt_u32 s82, s66                                      // 00000000E8E8: BF0A4252
	s_cselect_b32 s20, s36, s60                                // 00000000E8EC: 85143C24
	v_readlane_b32 s82, v3, 33                                 // 00000000E8F0: D2890052 00014303
	s_and_b32 s82, s82, 0xffffff                               // 00000000E8F8: 8652FF52 00FFFFFF
	s_cmp_lt_u32 s82, s66                                      // 00000000E900: BF0A4252
	s_cselect_b32 s21, s36, s60                                // 00000000E904: 85153C24
	s_mov_b64 exec, s[20:21]                                   // 00000000E908: BEFE0114
	global_atomic_add_f32 v6, v238, s[8:9] offset:8            // 00000000E90C: DD348008 0008EE06
	global_atomic_add_f32 v6, v242, s[8:9] offset:264          // 00000000E914: DD348108 0008F206
	s_mov_b64 exec, s[36:37]                                   // 00000000E91C: BEFE0124
	v_mov_b32_e32 v6, v87                                      // 00000000E920: 7E0C0357
	s_mov_b64 s[60:61], 0                                      // 00000000E924: BEBC0180
	v_readlane_b32 s82, v3, 34                                 // 00000000E928: D2890052 00014503
	s_and_b32 s82, s82, 0xffffff                               // 00000000E930: 8652FF52 00FFFFFF
	s_cmp_lt_u32 s82, s66                                      // 00000000E938: BF0A4252
	s_cselect_b32 s20, s36, s60                                // 00000000E93C: 85143C24
	v_readlane_b32 s82, v3, 35                                 // 00000000E940: D2890052 00014703
	s_and_b32 s82, s82, 0xffffff                               // 00000000E948: 8652FF52 00FFFFFF
	s_cmp_lt_u32 s82, s66                                      // 00000000E950: BF0A4252
	s_cselect_b32 s21, s36, s60                                // 00000000E954: 85153C24
	s_mov_b64 exec, s[20:21]                                   // 00000000E958: BEFE0114
	global_atomic_add_f32 v6, v239, s[8:9] offset:8            // 00000000E95C: DD348008 0008EF06
	global_atomic_add_f32 v6, v243, s[8:9] offset:264          // 00000000E964: DD348108 0008F306
	s_mov_b64 exec, s[36:37]                                   // 00000000E96C: BEFE0124
	v_mov_b32_e32 v6, v88                                      // 00000000E970: 7E0C0358
	s_mov_b64 s[60:61], 0                                      // 00000000E974: BEBC0180
	v_readlane_b32 s82, v3, 36                                 // 00000000E978: D2890052 00014903
	s_and_b32 s82, s82, 0xffffff                               // 00000000E980: 8652FF52 00FFFFFF
	s_cmp_lt_u32 s82, s66                                      // 00000000E988: BF0A4252
	s_cselect_b32 s20, s36, s60                                // 00000000E98C: 85143C24
	v_readlane_b32 s82, v3, 37                                 // 00000000E990: D2890052 00014B03
	s_and_b32 s82, s82, 0xffffff                               // 00000000E998: 8652FF52 00FFFFFF
	s_cmp_lt_u32 s82, s66                                      // 00000000E9A0: BF0A4252
	s_cselect_b32 s21, s36, s60                                // 00000000E9A4: 85153C24
	s_mov_b64 exec, s[20:21]                                   // 00000000E9A8: BEFE0114
	global_atomic_add_f32 v6, v246, s[8:9] offset:8            // 00000000E9AC: DD348008 0008F606
	global_atomic_add_f32 v6, v250, s[8:9] offset:264          // 00000000E9B4: DD348108 0008FA06
	s_mov_b64 exec, s[36:37]                                   // 00000000E9BC: BEFE0124
	v_mov_b32_e32 v6, v89                                      // 00000000E9C0: 7E0C0359
	s_mov_b64 s[60:61], 0                                      // 00000000E9C4: BEBC0180
	v_readlane_b32 s82, v3, 38                                 // 00000000E9C8: D2890052 00014D03
	s_and_b32 s82, s82, 0xffffff                               // 00000000E9D0: 8652FF52 00FFFFFF
	s_cmp_lt_u32 s82, s66                                      // 00000000E9D8: BF0A4252
	s_cselect_b32 s20, s36, s60                                // 00000000E9DC: 85143C24
	v_readlane_b32 s82, v3, 39                                 // 00000000E9E0: D2890052 00014F03
	s_and_b32 s82, s82, 0xffffff                               // 00000000E9E8: 8652FF52 00FFFFFF
	s_cmp_lt_u32 s82, s66                                      // 00000000E9F0: BF0A4252
	s_cselect_b32 s21, s36, s60                                // 00000000E9F4: 85153C24
	s_mov_b64 exec, s[20:21]                                   // 00000000E9F8: BEFE0114
	global_atomic_add_f32 v6, v247, s[8:9] offset:8            // 00000000E9FC: DD348008 0008F706
	global_atomic_add_f32 v6, v251, s[8:9] offset:264          // 00000000EA04: DD348108 0008FB06
	s_mov_b64 exec, s[36:37]                                   // 00000000EA0C: BEFE0124
	s_branch label_5BB8                                        // 00000000EA10: BF822BB0

000000000000ea14 <label_3008>:
	s_waitcnt vmcnt(35) lgkmcnt(0)                             // 00000000EA14: BF8C8073
	v_mul_f32_dpp v4, v24, v40 row_newbcast:0 row_mask:0xf bank_mask:0xf// 00000000EA18: 0A0850FA FF015018
	v_mfma_f32_16x16x32_fp8_fp8 v[8:11], a[160:161], a[0:1], 0 // 00000000EA20: D3F30008 1A0201A0
	buffer_load_dword v25, v22, s[32:35], 0 offen              // 00000000EA28: E0501000 80081916
	buffer_load_dwordx4 a[192:195], v90, s[24:27], 0 offen     // 00000000EA30: E05C1000 8086C05A
	v_mfma_f32_16x16x32_fp8_fp8 v[8:11], a[162:163], a[2:3], v[8:11]// 00000000EA38: D3F30008 1C2205A2
	v_mfma_f32_16x16x32_fp8_fp8 v[8:11], a[164:165], a[4:5], v[8:11]// 00000000EA40: D3F30008 1C2209A4
	v_mfma_f32_16x16x32_fp8_fp8 v[8:11], a[166:167], a[6:7], v[8:11]// 00000000EA48: D3F30008 1C220DA6
	v_mfma_f32_16x16x32_fp8_fp8 v[12:15], a[168:169], a[0:1], 0// 00000000EA50: D3F3000C 1A0201A8
	buffer_load_dwordx4 a[196:199], v90, s[24:27], 0 offen offset:1024// 00000000EA58: E05C1400 8086C45A
	v_mfma_f32_16x16x32_fp8_fp8 v[12:15], a[170:171], a[2:3], v[12:15]// 00000000EA60: D3F3000C 1C3205AA
	v_mfma_f32_16x16x32_fp8_fp8 v[12:15], a[172:173], a[4:5], v[12:15]// 00000000EA68: D3F3000C 1C3209AC
	v_mfma_f32_16x16x32_fp8_fp8 v[12:15], a[174:175], a[6:7], v[12:15]// 00000000EA70: D3F3000C 1C320DAE
	v_fma_f32 v92, v8, v4, v92                                 // 00000000EA78: D1CB005C 05720908
	v_fma_f32 v93, v9, v4, v93                                 // 00000000EA80: D1CB005D 05760909
	v_fma_f32 v94, v10, v4, v94                                // 00000000EA88: D1CB005E 057A090A
	v_fma_f32 v95, v11, v4, v95                                // 00000000EA90: D1CB005F 057E090B
	v_mul_f32_dpp v6, v24, v41 row_newbcast:0 row_mask:0xf bank_mask:0xf// 00000000EA98: 0A0C52FA FF015018
	v_mfma_f32_16x16x32_fp8_fp8 v[8:11], a[160:161], a[8:9], 0 // 00000000EAA0: D3F30008 1A0211A0
	buffer_load_dwordx4 a[200:203], v91, s[24:27], 0 offen     // 00000000EAA8: E05C1000 8086C85B
	v_mfma_f32_16x16x32_fp8_fp8 v[8:11], a[162:163], a[10:11], v[8:11]// 00000000EAB0: D3F30008 1C2215A2
	v_mfma_f32_16x16x32_fp8_fp8 v[8:11], a[164:165], a[12:13], v[8:11]// 00000000EAB8: D3F30008 1C2219A4
	v_mfma_f32_16x16x32_fp8_fp8 v[8:11], a[166:167], a[14:15], v[8:11]// 00000000EAC0: D3F30008 1C221DA6
	v_fma_f32 v132, v12, v4, v132                              // 00000000EAC8: D1CB0084 0612090C
	v_fma_f32 v133, v13, v4, v133                              // 00000000EAD0: D1CB0085 0616090D
	v_fma_f32 v134, v14, v4, v134                              // 00000000EAD8: D1CB0086 061A090E
	v_fma_f32 v135, v15, v4, v135                              // 00000000EAE0: D1CB0087 061E090F
	v_mfma_f32_16x16x32_fp8_fp8 v[12:15], a[168:169], a[8:9], 0// 00000000EAE8: D3F3000C 1A0211A8
	buffer_load_dwordx4 a[204:207], v91, s[24:27], 0 offen offset:1024// 00000000EAF0: E05C1400 8086CC5B
	buffer_load_dword v70, s[20:23], 0 offen lds               // 00000000EAF8: E0511000 80050046
	s_add_u32 m0, 0x100, s50                                   // 00000000EB00: 807C32FF 00000100
	v_mfma_f32_16x16x32_fp8_fp8 v[12:15], a[170:171], a[10:11], v[12:15]// 00000000EB08: D3F3000C 1C3215AA
	v_mfma_f32_16x16x32_fp8_fp8 v[12:15], a[172:173], a[12:13], v[12:15]// 00000000EB10: D3F3000C 1C3219AC
	buffer_load_dword v71, s[20:23], 0 offen lds               // 00000000EB18: E0511000 80050047
	s_add_u32 m0, 0x200, s50                                   // 00000000EB20: 807C32FF 00000200
	v_mfma_f32_16x16x32_fp8_fp8 v[12:15], a[174:175], a[14:15], v[12:15]// 00000000EB28: D3F3000C 1C321DAE
	v_fma_f32 v96, v8, v6, v96                                 // 00000000EB30: D1CB0060 05820D08
	v_fma_f32 v97, v9, v6, v97                                 // 00000000EB38: D1CB0061 05860D09
	v_fma_f32 v98, v10, v6, v98                                // 00000000EB40: D1CB0062 058A0D0A
	v_fma_f32 v99, v11, v6, v99                                // 00000000EB48: D1CB0063 058E0D0B
	v_mul_f32_dpp v4, v24, v42 row_newbcast:0 row_mask:0xf bank_mask:0xf// 00000000EB50: 0A0854FA FF015018
	v_mfma_f32_16x16x32_fp8_fp8 v[8:11], a[160:161], a[16:17], 0// 00000000EB58: D3F30008 1A0221A0
	buffer_load_dword v72, s[20:23], 0 offen lds               // 00000000EB60: E0511000 80050048
	s_add_u32 m0, 0x300, s50                                   // 00000000EB68: 807C32FF 00000300
	v_mfma_f32_16x16x32_fp8_fp8 v[8:11], a[162:163], a[18:19], v[8:11]// 00000000EB70: D3F30008 1C2225A2
	v_mfma_f32_16x16x32_fp8_fp8 v[8:11], a[164:165], a[20:21], v[8:11]// 00000000EB78: D3F30008 1C2229A4
	buffer_load_dword v73, s[20:23], 0 offen lds               // 00000000EB80: E0511000 80050049
	s_add_u32 m0, 0x400, s50                                   // 00000000EB88: 807C32FF 00000400
	v_mfma_f32_16x16x32_fp8_fp8 v[8:11], a[166:167], a[22:23], v[8:11]// 00000000EB90: D3F30008 1C222DA6
	v_fma_f32 v136, v12, v6, v136                              // 00000000EB98: D1CB0088 06220D0C
	v_fma_f32 v137, v13, v6, v137                              // 00000000EBA0: D1CB0089 06260D0D
	v_fma_f32 v138, v14, v6, v138                              // 00000000EBA8: D1CB008A 062A0D0E
	v_fma_f32 v139, v15, v6, v139                              // 00000000EBB0: D1CB008B 062E0D0F
	v_mfma_f32_16x16x32_fp8_fp8 v[12:15], a[168:169], a[16:17], 0// 00000000EBB8: D3F3000C 1A0221A8
	buffer_load_dword v74, s[20:23], 0 offen lds               // 00000000EBC0: E0511000 8005004A
	s_add_u32 m0, 0x500, s50                                   // 00000000EBC8: 807C32FF 00000500
	v_mfma_f32_16x16x32_fp8_fp8 v[12:15], a[170:171], a[18:19], v[12:15]// 00000000EBD0: D3F3000C 1C3225AA
	v_mfma_f32_16x16x32_fp8_fp8 v[12:15], a[172:173], a[20:21], v[12:15]// 00000000EBD8: D3F3000C 1C3229AC
	buffer_load_dword v75, s[20:23], 0 offen lds               // 00000000EBE0: E0511000 8005004B
	s_add_u32 m0, 0x600, s50                                   // 00000000EBE8: 807C32FF 00000600
	v_mfma_f32_16x16x32_fp8_fp8 v[12:15], a[174:175], a[22:23], v[12:15]// 00000000EBF0: D3F3000C 1C322DAE
	v_fma_f32 v100, v8, v4, v100                               // 00000000EBF8: D1CB0064 05920908
	v_fma_f32 v101, v9, v4, v101                               // 00000000EC00: D1CB0065 05960909
	v_fma_f32 v102, v10, v4, v102                              // 00000000EC08: D1CB0066 059A090A
	v_fma_f32 v103, v11, v4, v103                              // 00000000EC10: D1CB0067 059E090B
	v_mul_f32_dpp v6, v24, v43 row_newbcast:0 row_mask:0xf bank_mask:0xf// 00000000EC18: 0A0C56FA FF015018
	v_mfma_f32_16x16x32_fp8_fp8 v[8:11], a[160:161], a[24:25], 0// 00000000EC20: D3F30008 1A0231A0
	buffer_load_dword v76, s[20:23], 0 offen lds               // 00000000EC28: E0511000 8005004C
	s_add_u32 m0, 0x700, s50                                   // 00000000EC30: 807C32FF 00000700
	v_mfma_f32_16x16x32_fp8_fp8 v[8:11], a[162:163], a[26:27], v[8:11]// 00000000EC38: D3F30008 1C2235A2
	v_mfma_f32_16x16x32_fp8_fp8 v[8:11], a[164:165], a[28:29], v[8:11]// 00000000EC40: D3F30008 1C2239A4
	buffer_load_dword v77, s[20:23], 0 offen lds               // 00000000EC48: E0511000 8005004D
	s_add_u32 m0, 0x800, s50                                   // 00000000EC50: 807C32FF 00000800
	v_mfma_f32_16x16x32_fp8_fp8 v[8:11], a[166:167], a[30:31], v[8:11]// 00000000EC58: D3F30008 1C223DA6
	v_fma_f32 v140, v12, v4, v140                              // 00000000EC60: D1CB008C 0632090C
	v_fma_f32 v141, v13, v4, v141                              // 00000000EC68: D1CB008D 0636090D
	v_fma_f32 v142, v14, v4, v142                              // 00000000EC70: D1CB008E 063A090E
	v_fma_f32 v143, v15, v4, v143                              // 00000000EC78: D1CB008F 063E090F
	v_mfma_f32_16x16x32_fp8_fp8 v[12:15], a[168:169], a[24:25], 0// 00000000EC80: D3F3000C 1A0231A8
	buffer_load_dword v78, s[20:23], 0 offen lds               // 00000000EC88: E0511000 8005004E
	s_add_u32 m0, 0x900, s50                                   // 00000000EC90: 807C32FF 00000900
	v_mfma_f32_16x16x32_fp8_fp8 v[12:15], a[170:171], a[26:27], v[12:15]// 00000000EC98: D3F3000C 1C3235AA
	v_mfma_f32_16x16x32_fp8_fp8 v[12:15], a[172:173], a[28:29], v[12:15]// 00000000ECA0: D3F3000C 1C3239AC
	buffer_load_dword v79, s[20:23], 0 offen lds               // 00000000ECA8: E0511000 8005004F
	s_add_u32 m0, 0xa00, s50                                   // 00000000ECB0: 807C32FF 00000A00
	v_mfma_f32_16x16x32_fp8_fp8 v[12:15], a[174:175], a[30:31], v[12:15]// 00000000ECB8: D3F3000C 1C323DAE
	v_fma_f32 v104, v8, v6, v104                               // 00000000ECC0: D1CB0068 05A20D08
	v_fma_f32 v105, v9, v6, v105                               // 00000000ECC8: D1CB0069 05A60D09
	v_fma_f32 v106, v10, v6, v106                              // 00000000ECD0: D1CB006A 05AA0D0A
	v_fma_f32 v107, v11, v6, v107                              // 00000000ECD8: D1CB006B 05AE0D0B
	v_mul_f32_dpp v4, v24, v44 row_newbcast:0 row_mask:0xf bank_mask:0xf// 00000000ECE0: 0A0858FA FF015018
	v_mfma_f32_16x16x32_fp8_fp8 v[8:11], a[160:161], a[32:33], 0// 00000000ECE8: D3F30008 1A0241A0
	buffer_load_dword v80, s[20:23], 0 offen lds               // 00000000ECF0: E0511000 80050050
	s_add_u32 m0, 0xb00, s50                                   // 00000000ECF8: 807C32FF 00000B00
	v_mfma_f32_16x16x32_fp8_fp8 v[8:11], a[162:163], a[34:35], v[8:11]// 00000000ED00: D3F30008 1C2245A2
	v_mfma_f32_16x16x32_fp8_fp8 v[8:11], a[164:165], a[36:37], v[8:11]// 00000000ED08: D3F30008 1C2249A4
	buffer_load_dword v81, s[20:23], 0 offen lds               // 00000000ED10: E0511000 80050051
	s_add_u32 m0, 0xc00, s50                                   // 00000000ED18: 807C32FF 00000C00
	v_mfma_f32_16x16x32_fp8_fp8 v[8:11], a[166:167], a[38:39], v[8:11]// 00000000ED20: D3F30008 1C224DA6
	v_fma_f32 v144, v12, v6, v144                              // 00000000ED28: D1CB0090 06420D0C
	v_fma_f32 v145, v13, v6, v145                              // 00000000ED30: D1CB0091 06460D0D
	v_fma_f32 v146, v14, v6, v146                              // 00000000ED38: D1CB0092 064A0D0E
	v_fma_f32 v147, v15, v6, v147                              // 00000000ED40: D1CB0093 064E0D0F
	v_mfma_f32_16x16x32_fp8_fp8 v[12:15], a[168:169], a[32:33], 0// 00000000ED48: D3F3000C 1A0241A8
	buffer_load_dword v82, s[20:23], 0 offen lds               // 00000000ED50: E0511000 80050052
	s_add_u32 m0, 0xd00, s50                                   // 00000000ED58: 807C32FF 00000D00
	v_mfma_f32_16x16x32_fp8_fp8 v[12:15], a[170:171], a[34:35], v[12:15]// 00000000ED60: D3F3000C 1C3245AA
	v_mfma_f32_16x16x32_fp8_fp8 v[12:15], a[172:173], a[36:37], v[12:15]// 00000000ED68: D3F3000C 1C3249AC
	buffer_load_dword v83, s[20:23], 0 offen lds               // 00000000ED70: E0511000 80050053
	s_add_u32 m0, 0xe00, s50                                   // 00000000ED78: 807C32FF 00000E00
	v_mfma_f32_16x16x32_fp8_fp8 v[12:15], a[174:175], a[38:39], v[12:15]// 00000000ED80: D3F3000C 1C324DAE
	v_fma_f32 v108, v8, v4, v108                               // 00000000ED88: D1CB006C 05B20908
	v_fma_f32 v109, v9, v4, v109                               // 00000000ED90: D1CB006D 05B60909
	v_fma_f32 v110, v10, v4, v110                              // 00000000ED98: D1CB006E 05BA090A
	v_fma_f32 v111, v11, v4, v111                              // 00000000EDA0: D1CB006F 05BE090B
	v_mul_f32_dpp v6, v24, v45 row_newbcast:0 row_mask:0xf bank_mask:0xf// 00000000EDA8: 0A0C5AFA FF015018
	v_mfma_f32_16x16x32_fp8_fp8 v[8:11], a[160:161], a[40:41], 0// 00000000EDB0: D3F30008 1A0251A0
	buffer_load_dword v84, s[20:23], 0 offen lds               // 00000000EDB8: E0511000 80050054
	s_add_u32 m0, 0xf00, s50                                   // 00000000EDC0: 807C32FF 00000F00
	v_mfma_f32_16x16x32_fp8_fp8 v[8:11], a[162:163], a[42:43], v[8:11]// 00000000EDC8: D3F30008 1C2255A2
	v_mfma_f32_16x16x32_fp8_fp8 v[8:11], a[164:165], a[44:45], v[8:11]// 00000000EDD0: D3F30008 1C2259A4
	buffer_load_dword v85, s[20:23], 0 offen lds               // 00000000EDD8: E0511000 80050055
	s_add_u32 m0, 0x1000, s50                                  // 00000000EDE0: 807C32FF 00001000
	v_mfma_f32_16x16x32_fp8_fp8 v[8:11], a[166:167], a[46:47], v[8:11]// 00000000EDE8: D3F30008 1C225DA6
	v_fma_f32 v148, v12, v4, v148                              // 00000000EDF0: D1CB0094 0652090C
	v_fma_f32 v149, v13, v4, v149                              // 00000000EDF8: D1CB0095 0656090D
	v_fma_f32 v150, v14, v4, v150                              // 00000000EE00: D1CB0096 065A090E
	v_fma_f32 v151, v15, v4, v151                              // 00000000EE08: D1CB0097 065E090F
	v_mfma_f32_16x16x32_fp8_fp8 v[12:15], a[168:169], a[40:41], 0// 00000000EE10: D3F3000C 1A0251A8
	buffer_load_dword v86, s[20:23], 0 offen lds               // 00000000EE18: E0511000 80050056
	s_add_u32 m0, 0x1100, s50                                  // 00000000EE20: 807C32FF 00001100
	v_mfma_f32_16x16x32_fp8_fp8 v[12:15], a[170:171], a[42:43], v[12:15]// 00000000EE28: D3F3000C 1C3255AA
	v_mfma_f32_16x16x32_fp8_fp8 v[12:15], a[172:173], a[44:45], v[12:15]// 00000000EE30: D3F3000C 1C3259AC
	buffer_load_dword v87, s[20:23], 0 offen lds               // 00000000EE38: E0511000 80050057
	s_add_u32 m0, 0x1200, s50                                  // 00000000EE40: 807C32FF 00001200
	v_mfma_f32_16x16x32_fp8_fp8 v[12:15], a[174:175], a[46:47], v[12:15]// 00000000EE48: D3F3000C 1C325DAE
	v_fma_f32 v112, v8, v6, v112                               // 00000000EE50: D1CB0070 05C20D08
	v_fma_f32 v113, v9, v6, v113                               // 00000000EE58: D1CB0071 05C60D09
	v_fma_f32 v114, v10, v6, v114                              // 00000000EE60: D1CB0072 05CA0D0A
	v_fma_f32 v115, v11, v6, v115                              // 00000000EE68: D1CB0073 05CE0D0B
	v_mul_f32_dpp v4, v24, v46 row_newbcast:0 row_mask:0xf bank_mask:0xf// 00000000EE70: 0A085CFA FF015018
	v_mfma_f32_16x16x32_fp8_fp8 v[8:11], a[160:161], a[48:49], 0// 00000000EE78: D3F30008 1A0261A0
	buffer_load_dword v88, s[20:23], 0 offen lds               // 00000000EE80: E0511000 80050058
	s_add_u32 m0, 0x1300, s50                                  // 00000000EE88: 807C32FF 00001300
	v_mfma_f32_16x16x32_fp8_fp8 v[8:11], a[162:163], a[50:51], v[8:11]// 00000000EE90: D3F30008 1C2265A2
	v_mfma_f32_16x16x32_fp8_fp8 v[8:11], a[164:165], a[52:53], v[8:11]// 00000000EE98: D3F30008 1C2269A4
	buffer_load_dword v89, s[20:23], 0 offen lds               // 00000000EEA0: E0511000 80050059
	s_add_u32 m0, 0, s48                                       // 00000000EEA8: 807C3080
	v_mfma_f32_16x16x32_fp8_fp8 v[8:11], a[166:167], a[54:55], v[8:11]// 00000000EEAC: D3F30008 1C226DA6
	v_fma_f32 v152, v12, v6, v152                              // 00000000EEB4: D1CB0098 06620D0C
	v_fma_f32 v153, v13, v6, v153                              // 00000000EEBC: D1CB0099 06660D0D
	v_fma_f32 v154, v14, v6, v154                              // 00000000EEC4: D1CB009A 066A0D0E
	v_fma_f32 v155, v15, v6, v155                              // 00000000EECC: D1CB009B 066E0D0F
	v_mfma_f32_16x16x32_fp8_fp8 v[12:15], a[168:169], a[48:49], 0// 00000000EED4: D3F3000C 1A0261A8
	buffer_load_dword v60, v30, s[28:31], 0 offen              // 00000000EEDC: E0501000 80073C1E
	v_mfma_f32_16x16x32_fp8_fp8 v[12:15], a[170:171], a[50:51], v[12:15]// 00000000EEE4: D3F3000C 1C3265AA
	v_mfma_f32_16x16x32_fp8_fp8 v[12:15], a[172:173], a[52:53], v[12:15]// 00000000EEEC: D3F3000C 1C3269AC
	buffer_load_dword v61, v31, s[28:31], 0 offen              // 00000000EEF4: E0501000 80073D1F
	v_mfma_f32_16x16x32_fp8_fp8 v[12:15], a[174:175], a[54:55], v[12:15]// 00000000EEFC: D3F3000C 1C326DAE
	v_fma_f32 v116, v8, v4, v116                               // 00000000EF04: D1CB0074 05D20908
	v_fma_f32 v117, v9, v4, v117                               // 00000000EF0C: D1CB0075 05D60909
	v_fma_f32 v118, v10, v4, v118                              // 00000000EF14: D1CB0076 05DA090A
	v_fma_f32 v119, v11, v4, v119                              // 00000000EF1C: D1CB0077 05DE090B
	v_mul_f32_dpp v6, v24, v47 row_newbcast:0 row_mask:0xf bank_mask:0xf// 00000000EF24: 0A0C5EFA FF015018
	v_mfma_f32_16x16x32_fp8_fp8 v[8:11], a[160:161], a[56:57], 0// 00000000EF2C: D3F30008 1A0271A0
	buffer_load_dword v62, v32, s[28:31], 0 offen              // 00000000EF34: E0501000 80073E20
	v_mfma_f32_16x16x32_fp8_fp8 v[8:11], a[162:163], a[58:59], v[8:11]// 00000000EF3C: D3F30008 1C2275A2
	v_mfma_f32_16x16x32_fp8_fp8 v[8:11], a[164:165], a[60:61], v[8:11]// 00000000EF44: D3F30008 1C2279A4
	buffer_load_dword v63, v33, s[28:31], 0 offen              // 00000000EF4C: E0501000 80073F21
	v_mfma_f32_16x16x32_fp8_fp8 v[8:11], a[166:167], a[62:63], v[8:11]// 00000000EF54: D3F30008 1C227DA6
	v_fma_f32 v156, v12, v4, v156                              // 00000000EF5C: D1CB009C 0672090C
	v_fma_f32 v157, v13, v4, v157                              // 00000000EF64: D1CB009D 0676090D
	v_fma_f32 v158, v14, v4, v158                              // 00000000EF6C: D1CB009E 067A090E
	v_fma_f32 v159, v15, v4, v159                              // 00000000EF74: D1CB009F 067E090F
	v_mfma_f32_16x16x32_fp8_fp8 v[12:15], a[168:169], a[56:57], 0// 00000000EF7C: D3F3000C 1A0271A8
	buffer_load_dword v64, v34, s[28:31], 0 offen              // 00000000EF84: E0501000 80074022
	v_mfma_f32_16x16x32_fp8_fp8 v[12:15], a[170:171], a[58:59], v[12:15]// 00000000EF8C: D3F3000C 1C3275AA
	v_mfma_f32_16x16x32_fp8_fp8 v[12:15], a[172:173], a[60:61], v[12:15]// 00000000EF94: D3F3000C 1C3279AC
	buffer_load_dword v65, v35, s[28:31], 0 offen              // 00000000EF9C: E0501000 80074123
	v_mfma_f32_16x16x32_fp8_fp8 v[12:15], a[174:175], a[62:63], v[12:15]// 00000000EFA4: D3F3000C 1C327DAE
	v_fma_f32 v120, v8, v6, v120                               // 00000000EFAC: D1CB0078 05E20D08
	v_fma_f32 v121, v9, v6, v121                               // 00000000EFB4: D1CB0079 05E60D09
	v_fma_f32 v122, v10, v6, v122                              // 00000000EFBC: D1CB007A 05EA0D0A
	v_fma_f32 v123, v11, v6, v123                              // 00000000EFC4: D1CB007B 05EE0D0B
	v_mul_f32_dpp v4, v24, v48 row_newbcast:0 row_mask:0xf bank_mask:0xf// 00000000EFCC: 0A0860FA FF015018
	v_mfma_f32_16x16x32_fp8_fp8 v[8:11], a[160:161], a[64:65], 0// 00000000EFD4: D3F30008 1A0281A0
	buffer_load_dword v66, v36, s[28:31], 0 offen              // 00000000EFDC: E0501000 80074224
	v_mfma_f32_16x16x32_fp8_fp8 v[8:11], a[162:163], a[66:67], v[8:11]// 00000000EFE4: D3F30008 1C2285A2
	v_mfma_f32_16x16x32_fp8_fp8 v[8:11], a[164:165], a[68:69], v[8:11]// 00000000EFEC: D3F30008 1C2289A4
	buffer_load_dword v67, v37, s[28:31], 0 offen              // 00000000EFF4: E0501000 80074325
	v_mfma_f32_16x16x32_fp8_fp8 v[8:11], a[166:167], a[70:71], v[8:11]// 00000000EFFC: D3F30008 1C228DA6
	v_fma_f32 v160, v12, v6, v160                              // 00000000F004: D1CB00A0 06820D0C
	v_fma_f32 v161, v13, v6, v161                              // 00000000F00C: D1CB00A1 06860D0D
	v_fma_f32 v162, v14, v6, v162                              // 00000000F014: D1CB00A2 068A0D0E
	v_fma_f32 v163, v15, v6, v163                              // 00000000F01C: D1CB00A3 068E0D0F
	v_mfma_f32_16x16x32_fp8_fp8 v[12:15], a[168:169], a[64:65], 0// 00000000F024: D3F3000C 1A0281A8
	buffer_load_dword v68, v38, s[28:31], 0 offen              // 00000000F02C: E0501000 80074426
	v_mfma_f32_16x16x32_fp8_fp8 v[12:15], a[170:171], a[66:67], v[12:15]// 00000000F034: D3F3000C 1C3285AA
	v_mfma_f32_16x16x32_fp8_fp8 v[12:15], a[172:173], a[68:69], v[12:15]// 00000000F03C: D3F3000C 1C3289AC
	buffer_load_dword v69, v39, s[28:31], 0 offen              // 00000000F044: E0501000 80074527
	v_mfma_f32_16x16x32_fp8_fp8 v[12:15], a[174:175], a[70:71], v[12:15]// 00000000F04C: D3F3000C 1C328DAE
	v_fma_f32 v124, v8, v4, v124                               // 00000000F054: D1CB007C 05F20908
	v_fma_f32 v125, v9, v4, v125                               // 00000000F05C: D1CB007D 05F60909
	v_fma_f32 v126, v10, v4, v126                              // 00000000F064: D1CB007E 05FA090A
	v_fma_f32 v127, v11, v4, v127                              // 00000000F06C: D1CB007F 05FE090B
	v_mul_f32_dpp v6, v24, v49 row_newbcast:0 row_mask:0xf bank_mask:0xf// 00000000F074: 0A0C62FA FF015018
	v_mfma_f32_16x16x32_fp8_fp8 v[8:11], a[160:161], a[72:73], 0// 00000000F07C: D3F30008 1A0291A0
	v_mfma_f32_16x16x32_fp8_fp8 v[8:11], a[162:163], a[74:75], v[8:11]// 00000000F084: D3F30008 1C2295A2
	v_mfma_f32_16x16x32_fp8_fp8 v[8:11], a[164:165], a[76:77], v[8:11]// 00000000F08C: D3F30008 1C2299A4
	v_mfma_f32_16x16x32_fp8_fp8 v[8:11], a[166:167], a[78:79], v[8:11]// 00000000F094: D3F30008 1C229DA6
	v_fma_f32 v164, v12, v4, v164                              // 00000000F09C: D1CB00A4 0692090C
	v_fma_f32 v165, v13, v4, v165                              // 00000000F0A4: D1CB00A5 0696090D
	v_fma_f32 v166, v14, v4, v166                              // 00000000F0AC: D1CB00A6 069A090E
	v_fma_f32 v167, v15, v4, v167                              // 00000000F0B4: D1CB00A7 069E090F
	v_mfma_f32_16x16x32_fp8_fp8 v[12:15], a[168:169], a[72:73], 0// 00000000F0BC: D3F3000C 1A0291A8
	v_mfma_f32_16x16x32_fp8_fp8 v[12:15], a[170:171], a[74:75], v[12:15]// 00000000F0C4: D3F3000C 1C3295AA
	v_mfma_f32_16x16x32_fp8_fp8 v[12:15], a[172:173], a[76:77], v[12:15]// 00000000F0CC: D3F3000C 1C3299AC
	v_mfma_f32_16x16x32_fp8_fp8 v[12:15], a[174:175], a[78:79], v[12:15]// 00000000F0D4: D3F3000C 1C329DAE
	v_fma_f32 v128, v8, v6, v128                               // 00000000F0DC: D1CB0080 06020D08
	v_fma_f32 v129, v9, v6, v129                               // 00000000F0E4: D1CB0081 06060D09
	v_fma_f32 v130, v10, v6, v130                              // 00000000F0EC: D1CB0082 060A0D0A
	v_fma_f32 v131, v11, v6, v131                              // 00000000F0F4: D1CB0083 060E0D0B
	v_fma_f32 v168, v12, v6, v168                              // 00000000F0FC: D1CB00A8 06A20D0C
	v_fma_f32 v169, v13, v6, v169                              // 00000000F104: D1CB00A9 06A60D0D
	v_fma_f32 v170, v14, v6, v170                              // 00000000F10C: D1CB00AA 06AA0D0E
	v_fma_f32 v171, v15, v6, v171                              // 00000000F114: D1CB00AB 06AE0D0F
	s_waitcnt vmcnt(35)                                        // 00000000F11C: BF8C8F73
	s_barrier                                                  // 00000000F120: BF8A0000
	v_mul_f32_dpp v4, v27, v40 row_newbcast:0 row_mask:0xf bank_mask:0xf// 00000000F124: 0A0850FA FF01501B
	v_mfma_f32_16x16x32_fp8_fp8 v[8:11], a[176:177], a[0:1], 0 // 00000000F12C: D3F30008 1A0201B0
	buffer_load_dword v28, v23, s[32:35], 0 offen              // 00000000F134: E0501000 80081C17
	buffer_load_dwordx4 a[160:163], v90, s[84:87], 0 offen     // 00000000F13C: E05C1000 8095A05A
	v_mfma_f32_16x16x32_fp8_fp8 v[8:11], a[178:179], a[2:3], v[8:11]// 00000000F144: D3F30008 1C2205B2
	v_mfma_f32_16x16x32_fp8_fp8 v[8:11], a[180:181], a[4:5], v[8:11]// 00000000F14C: D3F30008 1C2209B4
	ds_read_b128 a[80:83], v2 offset:20608                     // 00000000F154: DBFE5080 50000002
	ds_read_b128 a[84:87], v2 offset:20672                     // 00000000F15C: DBFE50C0 54000002
	v_mfma_f32_16x16x32_fp8_fp8 v[8:11], a[182:183], a[6:7], v[8:11]// 00000000F164: D3F30008 1C220DB6
	v_mfma_f32_16x16x32_fp8_fp8 v[12:15], a[184:185], a[0:1], 0// 00000000F16C: D3F3000C 1A0201B8
	buffer_load_dwordx4 a[164:167], v90, s[84:87], 0 offen offset:1024// 00000000F174: E05C1400 8095A45A
	v_mfma_f32_16x16x32_fp8_fp8 v[12:15], a[186:187], a[2:3], v[12:15]// 00000000F17C: D3F3000C 1C3205BA
	v_mfma_f32_16x16x32_fp8_fp8 v[12:15], a[188:189], a[4:5], v[12:15]// 00000000F184: D3F3000C 1C3209BC
	ds_read_b128 a[88:91], v2 offset:21120                     // 00000000F18C: DBFE5280 58000002
	ds_read_b128 a[92:95], v2 offset:21184                     // 00000000F194: DBFE52C0 5C000002
	v_mfma_f32_16x16x32_fp8_fp8 v[12:15], a[190:191], a[6:7], v[12:15]// 00000000F19C: D3F3000C 1C320DBE
	v_fma_f32 v172, v8, v4, v172                               // 00000000F1A4: D1CB00AC 06B20908
	v_fma_f32 v173, v9, v4, v173                               // 00000000F1AC: D1CB00AD 06B60909
	v_fma_f32 v174, v10, v4, v174                              // 00000000F1B4: D1CB00AE 06BA090A
	v_fma_f32 v175, v11, v4, v175                              // 00000000F1BC: D1CB00AF 06BE090B
	v_mul_f32_dpp v6, v27, v41 row_newbcast:0 row_mask:0xf bank_mask:0xf// 00000000F1C4: 0A0C52FA FF01501B
	v_mfma_f32_16x16x32_fp8_fp8 v[8:11], a[176:177], a[8:9], 0 // 00000000F1CC: D3F30008 1A0211B0
	buffer_load_dwordx4 a[168:171], v91, s[84:87], 0 offen     // 00000000F1D4: E05C1000 8095A85B
	v_mfma_f32_16x16x32_fp8_fp8 v[8:11], a[178:179], a[10:11], v[8:11]// 00000000F1DC: D3F30008 1C2215B2
	v_mfma_f32_16x16x32_fp8_fp8 v[8:11], a[180:181], a[12:13], v[8:11]// 00000000F1E4: D3F30008 1C2219B4
	ds_read_b128 a[96:99], v2 offset:21632                     // 00000000F1EC: DBFE5480 60000002
	ds_read_b128 a[100:103], v2 offset:21696                   // 00000000F1F4: DBFE54C0 64000002
	v_mfma_f32_16x16x32_fp8_fp8 v[8:11], a[182:183], a[14:15], v[8:11]// 00000000F1FC: D3F30008 1C221DB6
	v_fma_f32 v212, v12, v4, v212                              // 00000000F204: D1CB00D4 0752090C
	v_fma_f32 v213, v13, v4, v213                              // 00000000F20C: D1CB00D5 0756090D
	v_fma_f32 v214, v14, v4, v214                              // 00000000F214: D1CB00D6 075A090E
	v_fma_f32 v215, v15, v4, v215                              // 00000000F21C: D1CB00D7 075E090F
	v_mfma_f32_16x16x32_fp8_fp8 v[12:15], a[184:185], a[8:9], 0// 00000000F224: D3F3000C 1A0211B8
	buffer_load_dwordx4 a[172:175], v91, s[84:87], 0 offen offset:1024// 00000000F22C: E05C1400 8095AC5B
	v_mfma_f32_16x16x32_fp8_fp8 v[12:15], a[186:187], a[10:11], v[12:15]// 00000000F234: D3F3000C 1C3215BA
	v_mfma_f32_16x16x32_fp8_fp8 v[12:15], a[188:189], a[12:13], v[12:15]// 00000000F23C: D3F3000C 1C3219BC
	ds_read_b128 a[104:107], v2 offset:22144                   // 00000000F244: DBFE5680 68000002
	ds_read_b128 a[108:111], v2 offset:22208                   // 00000000F24C: DBFE56C0 6C000002
	v_mfma_f32_16x16x32_fp8_fp8 v[12:15], a[190:191], a[14:15], v[12:15]// 00000000F254: D3F3000C 1C321DBE
	v_fma_f32 v176, v8, v6, v176                               // 00000000F25C: D1CB00B0 06C20D08
	v_fma_f32 v177, v9, v6, v177                               // 00000000F264: D1CB00B1 06C60D09
	v_fma_f32 v178, v10, v6, v178                              // 00000000F26C: D1CB00B2 06CA0D0A
	v_fma_f32 v179, v11, v6, v179                              // 00000000F274: D1CB00B3 06CE0D0B
	v_mul_f32_dpp v4, v27, v42 row_newbcast:0 row_mask:0xf bank_mask:0xf// 00000000F27C: 0A0854FA FF01501B
	v_mfma_f32_16x16x32_fp8_fp8 v[8:11], a[176:177], a[16:17], 0// 00000000F284: D3F30008 1A0221B0
	v_mfma_f32_16x16x32_fp8_fp8 v[8:11], a[178:179], a[18:19], v[8:11]// 00000000F28C: D3F30008 1C2225B2
	v_mfma_f32_16x16x32_fp8_fp8 v[8:11], a[180:181], a[20:21], v[8:11]// 00000000F294: D3F30008 1C2229B4
	ds_read_b128 a[112:115], v2 offset:22656                   // 00000000F29C: DBFE5880 70000002
	ds_read_b128 a[116:119], v2 offset:22720                   // 00000000F2A4: DBFE58C0 74000002
	v_mfma_f32_16x16x32_fp8_fp8 v[8:11], a[182:183], a[22:23], v[8:11]// 00000000F2AC: D3F30008 1C222DB6
	v_fma_f32 v216, v12, v6, v216                              // 00000000F2B4: D1CB00D8 07620D0C
	v_fma_f32 v217, v13, v6, v217                              // 00000000F2BC: D1CB00D9 07660D0D
	v_fma_f32 v218, v14, v6, v218                              // 00000000F2C4: D1CB00DA 076A0D0E
	v_fma_f32 v219, v15, v6, v219                              // 00000000F2CC: D1CB00DB 076E0D0F
	v_mfma_f32_16x16x32_fp8_fp8 v[12:15], a[184:185], a[16:17], 0// 00000000F2D4: D3F3000C 1A0221B8
	v_mfma_f32_16x16x32_fp8_fp8 v[12:15], a[186:187], a[18:19], v[12:15]// 00000000F2DC: D3F3000C 1C3225BA
	v_mfma_f32_16x16x32_fp8_fp8 v[12:15], a[188:189], a[20:21], v[12:15]// 00000000F2E4: D3F3000C 1C3229BC
	ds_read_b128 a[120:123], v2 offset:23168                   // 00000000F2EC: DBFE5A80 78000002
	ds_read_b128 a[124:127], v2 offset:23232                   // 00000000F2F4: DBFE5AC0 7C000002
	v_mfma_f32_16x16x32_fp8_fp8 v[12:15], a[190:191], a[22:23], v[12:15]// 00000000F2FC: D3F3000C 1C322DBE
	v_fma_f32 v180, v8, v4, v180                               // 00000000F304: D1CB00B4 06D20908
	v_fma_f32 v181, v9, v4, v181                               // 00000000F30C: D1CB00B5 06D60909
	v_fma_f32 v182, v10, v4, v182                              // 00000000F314: D1CB00B6 06DA090A
	v_fma_f32 v183, v11, v4, v183                              // 00000000F31C: D1CB00B7 06DE090B
	v_mul_f32_dpp v6, v27, v43 row_newbcast:0 row_mask:0xf bank_mask:0xf// 00000000F324: 0A0C56FA FF01501B
	v_mfma_f32_16x16x32_fp8_fp8 v[8:11], a[176:177], a[24:25], 0// 00000000F32C: D3F30008 1A0231B0
	v_mfma_f32_16x16x32_fp8_fp8 v[8:11], a[178:179], a[26:27], v[8:11]// 00000000F334: D3F30008 1C2235B2
	v_mfma_f32_16x16x32_fp8_fp8 v[8:11], a[180:181], a[28:29], v[8:11]// 00000000F33C: D3F30008 1C2239B4
	ds_read_b128 a[128:131], v2 offset:23680                   // 00000000F344: DBFE5C80 80000002
	ds_read_b128 a[132:135], v2 offset:23744                   // 00000000F34C: DBFE5CC0 84000002
	v_mfma_f32_16x16x32_fp8_fp8 v[8:11], a[182:183], a[30:31], v[8:11]// 00000000F354: D3F30008 1C223DB6
	v_fma_f32 v220, v12, v4, v220                              // 00000000F35C: D1CB00DC 0772090C
	v_fma_f32 v221, v13, v4, v221                              // 00000000F364: D1CB00DD 0776090D
	v_fma_f32 v222, v14, v4, v222                              // 00000000F36C: D1CB00DE 077A090E
	v_fma_f32 v223, v15, v4, v223                              // 00000000F374: D1CB00DF 077E090F
	v_mfma_f32_16x16x32_fp8_fp8 v[12:15], a[184:185], a[24:25], 0// 00000000F37C: D3F3000C 1A0231B8
	v_mfma_f32_16x16x32_fp8_fp8 v[12:15], a[186:187], a[26:27], v[12:15]// 00000000F384: D3F3000C 1C3235BA
	v_mfma_f32_16x16x32_fp8_fp8 v[12:15], a[188:189], a[28:29], v[12:15]// 00000000F38C: D3F3000C 1C3239BC
	ds_read_b128 a[136:139], v2 offset:24192                   // 00000000F394: DBFE5E80 88000002
	ds_read_b128 a[140:143], v2 offset:24256                   // 00000000F39C: DBFE5EC0 8C000002
	v_mfma_f32_16x16x32_fp8_fp8 v[12:15], a[190:191], a[30:31], v[12:15]// 00000000F3A4: D3F3000C 1C323DBE
	v_fma_f32 v184, v8, v6, v184                               // 00000000F3AC: D1CB00B8 06E20D08
	v_fma_f32 v185, v9, v6, v185                               // 00000000F3B4: D1CB00B9 06E60D09
	v_fma_f32 v186, v10, v6, v186                              // 00000000F3BC: D1CB00BA 06EA0D0A
	v_fma_f32 v187, v11, v6, v187                              // 00000000F3C4: D1CB00BB 06EE0D0B
	v_mul_f32_dpp v4, v27, v44 row_newbcast:0 row_mask:0xf bank_mask:0xf// 00000000F3CC: 0A0858FA FF01501B
	v_mfma_f32_16x16x32_fp8_fp8 v[8:11], a[176:177], a[32:33], 0// 00000000F3D4: D3F30008 1A0241B0
	v_mfma_f32_16x16x32_fp8_fp8 v[8:11], a[178:179], a[34:35], v[8:11]// 00000000F3DC: D3F30008 1C2245B2
	v_mfma_f32_16x16x32_fp8_fp8 v[8:11], a[180:181], a[36:37], v[8:11]// 00000000F3E4: D3F30008 1C2249B4
	ds_read_b128 a[144:147], v2 offset:24704                   // 00000000F3EC: DBFE6080 90000002
	ds_read_b128 a[148:151], v2 offset:24768                   // 00000000F3F4: DBFE60C0 94000002
	v_mfma_f32_16x16x32_fp8_fp8 v[8:11], a[182:183], a[38:39], v[8:11]// 00000000F3FC: D3F30008 1C224DB6
	v_fma_f32 v224, v12, v6, v224                              // 00000000F404: D1CB00E0 07820D0C
	v_fma_f32 v225, v13, v6, v225                              // 00000000F40C: D1CB00E1 07860D0D
	v_fma_f32 v226, v14, v6, v226                              // 00000000F414: D1CB00E2 078A0D0E
	v_fma_f32 v227, v15, v6, v227                              // 00000000F41C: D1CB00E3 078E0D0F
	v_mfma_f32_16x16x32_fp8_fp8 v[12:15], a[184:185], a[32:33], 0// 00000000F424: D3F3000C 1A0241B8
	v_mfma_f32_16x16x32_fp8_fp8 v[12:15], a[186:187], a[34:35], v[12:15]// 00000000F42C: D3F3000C 1C3245BA
	v_mfma_f32_16x16x32_fp8_fp8 v[12:15], a[188:189], a[36:37], v[12:15]// 00000000F434: D3F3000C 1C3249BC
	ds_read_b128 a[152:155], v2 offset:25216                   // 00000000F43C: DBFE6280 98000002
	ds_read_b128 a[156:159], v2 offset:25280                   // 00000000F444: DBFE62C0 9C000002
	v_mfma_f32_16x16x32_fp8_fp8 v[12:15], a[190:191], a[38:39], v[12:15]// 00000000F44C: D3F3000C 1C324DBE
	v_fma_f32 v188, v8, v4, v188                               // 00000000F454: D1CB00BC 06F20908
	v_fma_f32 v189, v9, v4, v189                               // 00000000F45C: D1CB00BD 06F60909
	v_fma_f32 v190, v10, v4, v190                              // 00000000F464: D1CB00BE 06FA090A
	v_fma_f32 v191, v11, v4, v191                              // 00000000F46C: D1CB00BF 06FE090B
	v_mul_f32_dpp v6, v27, v45 row_newbcast:0 row_mask:0xf bank_mask:0xf// 00000000F474: 0A0C5AFA FF01501B
	v_mfma_f32_16x16x32_fp8_fp8 v[8:11], a[176:177], a[40:41], 0// 00000000F47C: D3F30008 1A0251B0
	v_mfma_f32_16x16x32_fp8_fp8 v[8:11], a[178:179], a[42:43], v[8:11]// 00000000F484: D3F30008 1C2255B2
	v_mfma_f32_16x16x32_fp8_fp8 v[8:11], a[180:181], a[44:45], v[8:11]// 00000000F48C: D3F30008 1C2259B4
	v_mfma_f32_16x16x32_fp8_fp8 v[8:11], a[182:183], a[46:47], v[8:11]// 00000000F494: D3F30008 1C225DB6
	v_fma_f32 v228, v12, v4, v228                              // 00000000F49C: D1CB00E4 0792090C
	v_fma_f32 v229, v13, v4, v229                              // 00000000F4A4: D1CB00E5 0796090D
	v_fma_f32 v230, v14, v4, v230                              // 00000000F4AC: D1CB00E6 079A090E
	v_fma_f32 v231, v15, v4, v231                              // 00000000F4B4: D1CB00E7 079E090F
	v_mfma_f32_16x16x32_fp8_fp8 v[12:15], a[184:185], a[40:41], 0// 00000000F4BC: D3F3000C 1A0251B8
	v_mfma_f32_16x16x32_fp8_fp8 v[12:15], a[186:187], a[42:43], v[12:15]// 00000000F4C4: D3F3000C 1C3255BA
	v_mfma_f32_16x16x32_fp8_fp8 v[12:15], a[188:189], a[44:45], v[12:15]// 00000000F4CC: D3F3000C 1C3259BC
	v_mfma_f32_16x16x32_fp8_fp8 v[12:15], a[190:191], a[46:47], v[12:15]// 00000000F4D4: D3F3000C 1C325DBE
	v_fma_f32 v192, v8, v6, v192                               // 00000000F4DC: D1CB00C0 07020D08
	v_fma_f32 v193, v9, v6, v193                               // 00000000F4E4: D1CB00C1 07060D09
	v_fma_f32 v194, v10, v6, v194                              // 00000000F4EC: D1CB00C2 070A0D0A
	v_fma_f32 v195, v11, v6, v195                              // 00000000F4F4: D1CB00C3 070E0D0B
	v_mul_f32_dpp v4, v27, v46 row_newbcast:0 row_mask:0xf bank_mask:0xf// 00000000F4FC: 0A085CFA FF01501B
	v_mfma_f32_16x16x32_fp8_fp8 v[8:11], a[176:177], a[48:49], 0// 00000000F504: D3F30008 1A0261B0
	v_mfma_f32_16x16x32_fp8_fp8 v[8:11], a[178:179], a[50:51], v[8:11]// 00000000F50C: D3F30008 1C2265B2
	v_mfma_f32_16x16x32_fp8_fp8 v[8:11], a[180:181], a[52:53], v[8:11]// 00000000F514: D3F30008 1C2269B4
	v_mfma_f32_16x16x32_fp8_fp8 v[8:11], a[182:183], a[54:55], v[8:11]// 00000000F51C: D3F30008 1C226DB6
	v_fma_f32 v232, v12, v6, v232                              // 00000000F524: D1CB00E8 07A20D0C
	v_fma_f32 v233, v13, v6, v233                              // 00000000F52C: D1CB00E9 07A60D0D
	v_fma_f32 v234, v14, v6, v234                              // 00000000F534: D1CB00EA 07AA0D0E
	v_fma_f32 v235, v15, v6, v235                              // 00000000F53C: D1CB00EB 07AE0D0F
	v_mfma_f32_16x16x32_fp8_fp8 v[12:15], a[184:185], a[48:49], 0// 00000000F544: D3F3000C 1A0261B8
	v_mfma_f32_16x16x32_fp8_fp8 v[12:15], a[186:187], a[50:51], v[12:15]// 00000000F54C: D3F3000C 1C3265BA
	v_mfma_f32_16x16x32_fp8_fp8 v[12:15], a[188:189], a[52:53], v[12:15]// 00000000F554: D3F3000C 1C3269BC
	v_mfma_f32_16x16x32_fp8_fp8 v[12:15], a[190:191], a[54:55], v[12:15]// 00000000F55C: D3F3000C 1C326DBE
	v_fma_f32 v196, v8, v4, v196                               // 00000000F564: D1CB00C4 07120908
	v_fma_f32 v197, v9, v4, v197                               // 00000000F56C: D1CB00C5 07160909
	v_fma_f32 v198, v10, v4, v198                              // 00000000F574: D1CB00C6 071A090A
	v_fma_f32 v199, v11, v4, v199                              // 00000000F57C: D1CB00C7 071E090B
	v_mul_f32_dpp v6, v27, v47 row_newbcast:0 row_mask:0xf bank_mask:0xf// 00000000F584: 0A0C5EFA FF01501B
	v_mfma_f32_16x16x32_fp8_fp8 v[8:11], a[176:177], a[56:57], 0// 00000000F58C: D3F30008 1A0271B0
	v_mfma_f32_16x16x32_fp8_fp8 v[8:11], a[178:179], a[58:59], v[8:11]// 00000000F594: D3F30008 1C2275B2
	v_mfma_f32_16x16x32_fp8_fp8 v[8:11], a[180:181], a[60:61], v[8:11]// 00000000F59C: D3F30008 1C2279B4
	v_mfma_f32_16x16x32_fp8_fp8 v[8:11], a[182:183], a[62:63], v[8:11]// 00000000F5A4: D3F30008 1C227DB6
	v_fma_f32 v236, v12, v4, v236                              // 00000000F5AC: D1CB00EC 07B2090C
	v_fma_f32 v237, v13, v4, v237                              // 00000000F5B4: D1CB00ED 07B6090D
	v_fma_f32 v238, v14, v4, v238                              // 00000000F5BC: D1CB00EE 07BA090E
	v_fma_f32 v239, v15, v4, v239                              // 00000000F5C4: D1CB00EF 07BE090F
	v_mfma_f32_16x16x32_fp8_fp8 v[12:15], a[184:185], a[56:57], 0// 00000000F5CC: D3F3000C 1A0271B8
	v_mfma_f32_16x16x32_fp8_fp8 v[12:15], a[186:187], a[58:59], v[12:15]// 00000000F5D4: D3F3000C 1C3275BA
	v_mfma_f32_16x16x32_fp8_fp8 v[12:15], a[188:189], a[60:61], v[12:15]// 00000000F5DC: D3F3000C 1C3279BC
	v_mfma_f32_16x16x32_fp8_fp8 v[12:15], a[190:191], a[62:63], v[12:15]// 00000000F5E4: D3F3000C 1C327DBE
	v_fma_f32 v200, v8, v6, v200                               // 00000000F5EC: D1CB00C8 07220D08
	v_fma_f32 v201, v9, v6, v201                               // 00000000F5F4: D1CB00C9 07260D09
	v_fma_f32 v202, v10, v6, v202                              // 00000000F5FC: D1CB00CA 072A0D0A
	v_fma_f32 v203, v11, v6, v203                              // 00000000F604: D1CB00CB 072E0D0B
	v_mul_f32_dpp v4, v27, v48 row_newbcast:0 row_mask:0xf bank_mask:0xf// 00000000F60C: 0A0860FA FF01501B
	v_mfma_f32_16x16x32_fp8_fp8 v[8:11], a[176:177], a[64:65], 0// 00000000F614: D3F30008 1A0281B0
	v_mfma_f32_16x16x32_fp8_fp8 v[8:11], a[178:179], a[66:67], v[8:11]// 00000000F61C: D3F30008 1C2285B2
	v_mfma_f32_16x16x32_fp8_fp8 v[8:11], a[180:181], a[68:69], v[8:11]// 00000000F624: D3F30008 1C2289B4
	v_mfma_f32_16x16x32_fp8_fp8 v[8:11], a[182:183], a[70:71], v[8:11]// 00000000F62C: D3F30008 1C228DB6
	v_fma_f32 v240, v12, v6, v240                              // 00000000F634: D1CB00F0 07C20D0C
	v_fma_f32 v241, v13, v6, v241                              // 00000000F63C: D1CB00F1 07C60D0D
	v_fma_f32 v242, v14, v6, v242                              // 00000000F644: D1CB00F2 07CA0D0E
	v_fma_f32 v243, v15, v6, v243                              // 00000000F64C: D1CB00F3 07CE0D0F
	v_mfma_f32_16x16x32_fp8_fp8 v[12:15], a[184:185], a[64:65], 0// 00000000F654: D3F3000C 1A0281B8
	v_mfma_f32_16x16x32_fp8_fp8 v[12:15], a[186:187], a[66:67], v[12:15]// 00000000F65C: D3F3000C 1C3285BA
	v_mfma_f32_16x16x32_fp8_fp8 v[12:15], a[188:189], a[68:69], v[12:15]// 00000000F664: D3F3000C 1C3289BC
	v_mfma_f32_16x16x32_fp8_fp8 v[12:15], a[190:191], a[70:71], v[12:15]// 00000000F66C: D3F3000C 1C328DBE
	v_fma_f32 v204, v8, v4, v204                               // 00000000F674: D1CB00CC 07320908
	v_fma_f32 v205, v9, v4, v205                               // 00000000F67C: D1CB00CD 07360909
	v_fma_f32 v206, v10, v4, v206                              // 00000000F684: D1CB00CE 073A090A
	v_fma_f32 v207, v11, v4, v207                              // 00000000F68C: D1CB00CF 073E090B
	v_mul_f32_dpp v6, v27, v49 row_newbcast:0 row_mask:0xf bank_mask:0xf// 00000000F694: 0A0C62FA FF01501B
	v_mfma_f32_16x16x32_fp8_fp8 v[8:11], a[176:177], a[72:73], 0// 00000000F69C: D3F30008 1A0291B0
	s_add_u32 s60, 0x180, s80                                  // 00000000F6A4: 803C50FF 00000180
	s_cmp_lt_u32 s60, s81                                      // 00000000F6AC: BF0A513C
	s_cselect_b32 s57, s57, 0                                  // 00000000F6B0: 85398039
	s_cselect_b32 s3, s3, 0                                    // 00000000F6B4: 85038003
	v_mfma_f32_16x16x32_fp8_fp8 v[8:11], a[178:179], a[74:75], v[8:11]// 00000000F6B8: D3F30008 1C2295B2
	s_add_u32 s60, 0x100, s80                                  // 00000000F6C0: 803C50FF 00000100
	s_cmp_lt_u32 s60, s81                                      // 00000000F6C8: BF0A513C
	s_cselect_b32 s58, s58, 0                                  // 00000000F6CC: 853A803A
	v_mfma_f32_16x16x32_fp8_fp8 v[8:11], a[180:181], a[76:77], v[8:11]// 00000000F6D0: D3F30008 1C2299B4
	s_add_u32 s60, 0x100, s80                                  // 00000000F6D8: 803C50FF 00000100
	s_cmp_lt_u32 s60, s81                                      // 00000000F6E0: BF0A513C
	s_cselect_b32 s83, s83, 0                                  // 00000000F6E4: 85538053
	s_cselect_b32 s4, s4, 0                                    // 00000000F6E8: 85048004
	v_mfma_f32_16x16x32_fp8_fp8 v[8:11], a[182:183], a[78:79], v[8:11]// 00000000F6EC: D3F30008 1C229DB6
	s_add_u32 s24, s58, s24                                    // 00000000F6F4: 8018183A
	s_addc_u32 s25, 0, s25                                     // 00000000F6F8: 82191980
	v_fma_f32 v244, v12, v4, v244                              // 00000000F6FC: D1CB00F4 07D2090C
	v_fma_f32 v245, v13, v4, v245                              // 00000000F704: D1CB00F5 07D6090D
	v_fma_f32 v246, v14, v4, v246                              // 00000000F70C: D1CB00F6 07DA090E
	v_fma_f32 v247, v15, v4, v247                              // 00000000F714: D1CB00F7 07DE090F
	v_mfma_f32_16x16x32_fp8_fp8 v[12:15], a[184:185], a[72:73], 0// 00000000F71C: D3F3000C 1A0291B8
	s_add_u32 s20, s57, s20                                    // 00000000F724: 80141439
	s_addc_u32 s21, 0, s21                                     // 00000000F728: 82151580
	s_add_u32 s28, s3, s28                                     // 00000000F72C: 801C1C03
	s_addc_u32 s29, 0, s29                                     // 00000000F730: 821D1D80
	v_mfma_f32_16x16x32_fp8_fp8 v[12:15], a[186:187], a[74:75], v[12:15]// 00000000F734: D3F3000C 1C3295BA
	s_add_u32 s84, s83, s84                                    // 00000000F73C: 80545453
	s_addc_u32 s85, 0, s85                                     // 00000000F740: 82555580
	v_mfma_f32_16x16x32_fp8_fp8 v[12:15], a[188:189], a[76:77], v[12:15]// 00000000F744: D3F3000C 1C3299BC
	s_add_u32 s32, s4, s32                                     // 00000000F74C: 80202004
	s_addc_u32 s33, 0, s33                                     // 00000000F750: 82212180
	v_mfma_f32_16x16x32_fp8_fp8 v[12:15], a[190:191], a[78:79], v[12:15]// 00000000F754: D3F3000C 1C329DBE
	v_fma_f32 v208, v8, v6, v208                               // 00000000F75C: D1CB00D0 07420D08
	v_fma_f32 v209, v9, v6, v209                               // 00000000F764: D1CB00D1 07460D09
	v_fma_f32 v210, v10, v6, v210                              // 00000000F76C: D1CB00D2 074A0D0A
	v_fma_f32 v211, v11, v6, v211                              // 00000000F774: D1CB00D3 074E0D0B
	v_fma_f32 v248, v12, v6, v248                              // 00000000F77C: D1CB00F8 07E20D0C
	v_fma_f32 v249, v13, v6, v249                              // 00000000F784: D1CB00F9 07E60D0D
	v_fma_f32 v250, v14, v6, v250                              // 00000000F78C: D1CB00FA 07EA0D0E
	v_fma_f32 v251, v15, v6, v251                              // 00000000F794: D1CB00FB 07EE0D0F
	s_addk_i32 s80, 0x80                                       // 00000000F79C: B7500080
	s_cmp_lt_i32 s80, s81                                      // 00000000F7A0: BF045150
	s_cbranch_scc0 label_4467                                  // 00000000F7A4: BF8410FA
	s_waitcnt vmcnt(35) lgkmcnt(0)                             // 00000000F7A8: BF8C8073
	v_mul_f32_dpp v4, v25, v50 row_newbcast:0 row_mask:0xf bank_mask:0xf// 00000000F7AC: 0A0864FA FF015019
	v_mfma_f32_16x16x32_fp8_fp8 v[8:11], a[192:193], a[80:81], 0// 00000000F7B4: D3F30008 1A02A1C0
	buffer_load_dword v26, v22, s[32:35], 0 offen              // 00000000F7BC: E0501000 80081A16
	buffer_load_dwordx4 a[176:179], v90, s[24:27], 0 offen     // 00000000F7C4: E05C1000 8086B05A
	v_mfma_f32_16x16x32_fp8_fp8 v[8:11], a[194:195], a[82:83], v[8:11]// 00000000F7CC: D3F30008 1C22A5C2
	v_mfma_f32_16x16x32_fp8_fp8 v[8:11], a[196:197], a[84:85], v[8:11]// 00000000F7D4: D3F30008 1C22A9C4
	v_mfma_f32_16x16x32_fp8_fp8 v[8:11], a[198:199], a[86:87], v[8:11]// 00000000F7DC: D3F30008 1C22ADC6
	v_mfma_f32_16x16x32_fp8_fp8 v[12:15], a[200:201], a[80:81], 0// 00000000F7E4: D3F3000C 1A02A1C8
	buffer_load_dwordx4 a[180:183], v90, s[24:27], 0 offen offset:1024// 00000000F7EC: E05C1400 8086B45A
	v_mfma_f32_16x16x32_fp8_fp8 v[12:15], a[202:203], a[82:83], v[12:15]// 00000000F7F4: D3F3000C 1C32A5CA
	v_mfma_f32_16x16x32_fp8_fp8 v[12:15], a[204:205], a[84:85], v[12:15]// 00000000F7FC: D3F3000C 1C32A9CC
	v_mfma_f32_16x16x32_fp8_fp8 v[12:15], a[206:207], a[86:87], v[12:15]// 00000000F804: D3F3000C 1C32ADCE
	v_fma_f32 v92, v8, v4, v92                                 // 00000000F80C: D1CB005C 05720908
	v_fma_f32 v93, v9, v4, v93                                 // 00000000F814: D1CB005D 05760909
	v_fma_f32 v94, v10, v4, v94                                // 00000000F81C: D1CB005E 057A090A
	v_fma_f32 v95, v11, v4, v95                                // 00000000F824: D1CB005F 057E090B
	v_mul_f32_dpp v6, v25, v51 row_newbcast:0 row_mask:0xf bank_mask:0xf// 00000000F82C: 0A0C66FA FF015019
	v_mfma_f32_16x16x32_fp8_fp8 v[8:11], a[192:193], a[88:89], 0// 00000000F834: D3F30008 1A02B1C0
	buffer_load_dwordx4 a[184:187], v91, s[24:27], 0 offen     // 00000000F83C: E05C1000 8086B85B
	v_mfma_f32_16x16x32_fp8_fp8 v[8:11], a[194:195], a[90:91], v[8:11]// 00000000F844: D3F30008 1C22B5C2
	v_mfma_f32_16x16x32_fp8_fp8 v[8:11], a[196:197], a[92:93], v[8:11]// 00000000F84C: D3F30008 1C22B9C4
	v_mfma_f32_16x16x32_fp8_fp8 v[8:11], a[198:199], a[94:95], v[8:11]// 00000000F854: D3F30008 1C22BDC6
	v_fma_f32 v132, v12, v4, v132                              // 00000000F85C: D1CB0084 0612090C
	v_fma_f32 v133, v13, v4, v133                              // 00000000F864: D1CB0085 0616090D
	v_fma_f32 v134, v14, v4, v134                              // 00000000F86C: D1CB0086 061A090E
	v_fma_f32 v135, v15, v4, v135                              // 00000000F874: D1CB0087 061E090F
	v_mfma_f32_16x16x32_fp8_fp8 v[12:15], a[200:201], a[88:89], 0// 00000000F87C: D3F3000C 1A02B1C8
	buffer_load_dwordx4 a[188:191], v91, s[24:27], 0 offen offset:1024// 00000000F884: E05C1400 8086BC5B
	buffer_load_dword v70, s[20:23], 0 offen lds               // 00000000F88C: E0511000 80050046
	s_add_u32 m0, 0x100, s48                                   // 00000000F894: 807C30FF 00000100
	v_mfma_f32_16x16x32_fp8_fp8 v[12:15], a[202:203], a[90:91], v[12:15]// 00000000F89C: D3F3000C 1C32B5CA
	v_mfma_f32_16x16x32_fp8_fp8 v[12:15], a[204:205], a[92:93], v[12:15]// 00000000F8A4: D3F3000C 1C32B9CC
	buffer_load_dword v71, s[20:23], 0 offen lds               // 00000000F8AC: E0511000 80050047
	s_add_u32 m0, 0x200, s48                                   // 00000000F8B4: 807C30FF 00000200
	v_mfma_f32_16x16x32_fp8_fp8 v[12:15], a[206:207], a[94:95], v[12:15]// 00000000F8BC: D3F3000C 1C32BDCE
	v_fma_f32 v96, v8, v6, v96                                 // 00000000F8C4: D1CB0060 05820D08
	v_fma_f32 v97, v9, v6, v97                                 // 00000000F8CC: D1CB0061 05860D09
	v_fma_f32 v98, v10, v6, v98                                // 00000000F8D4: D1CB0062 058A0D0A
	v_fma_f32 v99, v11, v6, v99                                // 00000000F8DC: D1CB0063 058E0D0B
	v_mul_f32_dpp v4, v25, v52 row_newbcast:0 row_mask:0xf bank_mask:0xf// 00000000F8E4: 0A0868FA FF015019
	v_mfma_f32_16x16x32_fp8_fp8 v[8:11], a[192:193], a[96:97], 0// 00000000F8EC: D3F30008 1A02C1C0
	buffer_load_dword v72, s[20:23], 0 offen lds               // 00000000F8F4: E0511000 80050048
	s_add_u32 m0, 0x300, s48                                   // 00000000F8FC: 807C30FF 00000300
	v_mfma_f32_16x16x32_fp8_fp8 v[8:11], a[194:195], a[98:99], v[8:11]// 00000000F904: D3F30008 1C22C5C2
	v_mfma_f32_16x16x32_fp8_fp8 v[8:11], a[196:197], a[100:101], v[8:11]// 00000000F90C: D3F30008 1C22C9C4
	buffer_load_dword v73, s[20:23], 0 offen lds               // 00000000F914: E0511000 80050049
	s_add_u32 m0, 0x400, s48                                   // 00000000F91C: 807C30FF 00000400
	v_mfma_f32_16x16x32_fp8_fp8 v[8:11], a[198:199], a[102:103], v[8:11]// 00000000F924: D3F30008 1C22CDC6
	v_fma_f32 v136, v12, v6, v136                              // 00000000F92C: D1CB0088 06220D0C
	v_fma_f32 v137, v13, v6, v137                              // 00000000F934: D1CB0089 06260D0D
	v_fma_f32 v138, v14, v6, v138                              // 00000000F93C: D1CB008A 062A0D0E
	v_fma_f32 v139, v15, v6, v139                              // 00000000F944: D1CB008B 062E0D0F
	v_mfma_f32_16x16x32_fp8_fp8 v[12:15], a[200:201], a[96:97], 0// 00000000F94C: D3F3000C 1A02C1C8
	buffer_load_dword v74, s[20:23], 0 offen lds               // 00000000F954: E0511000 8005004A
	s_add_u32 m0, 0x500, s48                                   // 00000000F95C: 807C30FF 00000500
	v_mfma_f32_16x16x32_fp8_fp8 v[12:15], a[202:203], a[98:99], v[12:15]// 00000000F964: D3F3000C 1C32C5CA
	v_mfma_f32_16x16x32_fp8_fp8 v[12:15], a[204:205], a[100:101], v[12:15]// 00000000F96C: D3F3000C 1C32C9CC
	buffer_load_dword v75, s[20:23], 0 offen lds               // 00000000F974: E0511000 8005004B
	s_add_u32 m0, 0x600, s48                                   // 00000000F97C: 807C30FF 00000600
	v_mfma_f32_16x16x32_fp8_fp8 v[12:15], a[206:207], a[102:103], v[12:15]// 00000000F984: D3F3000C 1C32CDCE
	v_fma_f32 v100, v8, v4, v100                               // 00000000F98C: D1CB0064 05920908
	v_fma_f32 v101, v9, v4, v101                               // 00000000F994: D1CB0065 05960909
	v_fma_f32 v102, v10, v4, v102                              // 00000000F99C: D1CB0066 059A090A
	v_fma_f32 v103, v11, v4, v103                              // 00000000F9A4: D1CB0067 059E090B
	v_mul_f32_dpp v6, v25, v53 row_newbcast:0 row_mask:0xf bank_mask:0xf// 00000000F9AC: 0A0C6AFA FF015019
	v_mfma_f32_16x16x32_fp8_fp8 v[8:11], a[192:193], a[104:105], 0// 00000000F9B4: D3F30008 1A02D1C0
	buffer_load_dword v76, s[20:23], 0 offen lds               // 00000000F9BC: E0511000 8005004C
	s_add_u32 m0, 0x700, s48                                   // 00000000F9C4: 807C30FF 00000700
	v_mfma_f32_16x16x32_fp8_fp8 v[8:11], a[194:195], a[106:107], v[8:11]// 00000000F9CC: D3F30008 1C22D5C2
	v_mfma_f32_16x16x32_fp8_fp8 v[8:11], a[196:197], a[108:109], v[8:11]// 00000000F9D4: D3F30008 1C22D9C4
	buffer_load_dword v77, s[20:23], 0 offen lds               // 00000000F9DC: E0511000 8005004D
	s_add_u32 m0, 0x800, s48                                   // 00000000F9E4: 807C30FF 00000800
	v_mfma_f32_16x16x32_fp8_fp8 v[8:11], a[198:199], a[110:111], v[8:11]// 00000000F9EC: D3F30008 1C22DDC6
	v_fma_f32 v140, v12, v4, v140                              // 00000000F9F4: D1CB008C 0632090C
	v_fma_f32 v141, v13, v4, v141                              // 00000000F9FC: D1CB008D 0636090D
	v_fma_f32 v142, v14, v4, v142                              // 00000000FA04: D1CB008E 063A090E
	v_fma_f32 v143, v15, v4, v143                              // 00000000FA0C: D1CB008F 063E090F
	v_mfma_f32_16x16x32_fp8_fp8 v[12:15], a[200:201], a[104:105], 0// 00000000FA14: D3F3000C 1A02D1C8
	buffer_load_dword v78, s[20:23], 0 offen lds               // 00000000FA1C: E0511000 8005004E
	s_add_u32 m0, 0x900, s48                                   // 00000000FA24: 807C30FF 00000900
	v_mfma_f32_16x16x32_fp8_fp8 v[12:15], a[202:203], a[106:107], v[12:15]// 00000000FA2C: D3F3000C 1C32D5CA
	v_mfma_f32_16x16x32_fp8_fp8 v[12:15], a[204:205], a[108:109], v[12:15]// 00000000FA34: D3F3000C 1C32D9CC
	buffer_load_dword v79, s[20:23], 0 offen lds               // 00000000FA3C: E0511000 8005004F
	s_add_u32 m0, 0xa00, s48                                   // 00000000FA44: 807C30FF 00000A00
	v_mfma_f32_16x16x32_fp8_fp8 v[12:15], a[206:207], a[110:111], v[12:15]// 00000000FA4C: D3F3000C 1C32DDCE
	v_fma_f32 v104, v8, v6, v104                               // 00000000FA54: D1CB0068 05A20D08
	v_fma_f32 v105, v9, v6, v105                               // 00000000FA5C: D1CB0069 05A60D09
	v_fma_f32 v106, v10, v6, v106                              // 00000000FA64: D1CB006A 05AA0D0A
	v_fma_f32 v107, v11, v6, v107                              // 00000000FA6C: D1CB006B 05AE0D0B
	v_mul_f32_dpp v4, v25, v54 row_newbcast:0 row_mask:0xf bank_mask:0xf// 00000000FA74: 0A086CFA FF015019
	v_mfma_f32_16x16x32_fp8_fp8 v[8:11], a[192:193], a[112:113], 0// 00000000FA7C: D3F30008 1A02E1C0
	buffer_load_dword v80, s[20:23], 0 offen lds               // 00000000FA84: E0511000 80050050
	s_add_u32 m0, 0xb00, s48                                   // 00000000FA8C: 807C30FF 00000B00
	v_mfma_f32_16x16x32_fp8_fp8 v[8:11], a[194:195], a[114:115], v[8:11]// 00000000FA94: D3F30008 1C22E5C2
	v_mfma_f32_16x16x32_fp8_fp8 v[8:11], a[196:197], a[116:117], v[8:11]// 00000000FA9C: D3F30008 1C22E9C4
	buffer_load_dword v81, s[20:23], 0 offen lds               // 00000000FAA4: E0511000 80050051
	s_add_u32 m0, 0xc00, s48                                   // 00000000FAAC: 807C30FF 00000C00
	v_mfma_f32_16x16x32_fp8_fp8 v[8:11], a[198:199], a[118:119], v[8:11]// 00000000FAB4: D3F30008 1C22EDC6
	v_fma_f32 v144, v12, v6, v144                              // 00000000FABC: D1CB0090 06420D0C
	v_fma_f32 v145, v13, v6, v145                              // 00000000FAC4: D1CB0091 06460D0D
	v_fma_f32 v146, v14, v6, v146                              // 00000000FACC: D1CB0092 064A0D0E
	v_fma_f32 v147, v15, v6, v147                              // 00000000FAD4: D1CB0093 064E0D0F
	v_mfma_f32_16x16x32_fp8_fp8 v[12:15], a[200:201], a[112:113], 0// 00000000FADC: D3F3000C 1A02E1C8
	buffer_load_dword v82, s[20:23], 0 offen lds               // 00000000FAE4: E0511000 80050052
	s_add_u32 m0, 0xd00, s48                                   // 00000000FAEC: 807C30FF 00000D00
	v_mfma_f32_16x16x32_fp8_fp8 v[12:15], a[202:203], a[114:115], v[12:15]// 00000000FAF4: D3F3000C 1C32E5CA
	v_mfma_f32_16x16x32_fp8_fp8 v[12:15], a[204:205], a[116:117], v[12:15]// 00000000FAFC: D3F3000C 1C32E9CC
	buffer_load_dword v83, s[20:23], 0 offen lds               // 00000000FB04: E0511000 80050053
	s_add_u32 m0, 0xe00, s48                                   // 00000000FB0C: 807C30FF 00000E00
	v_mfma_f32_16x16x32_fp8_fp8 v[12:15], a[206:207], a[118:119], v[12:15]// 00000000FB14: D3F3000C 1C32EDCE
	v_fma_f32 v108, v8, v4, v108                               // 00000000FB1C: D1CB006C 05B20908
	v_fma_f32 v109, v9, v4, v109                               // 00000000FB24: D1CB006D 05B60909
	v_fma_f32 v110, v10, v4, v110                              // 00000000FB2C: D1CB006E 05BA090A
	v_fma_f32 v111, v11, v4, v111                              // 00000000FB34: D1CB006F 05BE090B
	v_mul_f32_dpp v6, v25, v55 row_newbcast:0 row_mask:0xf bank_mask:0xf// 00000000FB3C: 0A0C6EFA FF015019
	v_mfma_f32_16x16x32_fp8_fp8 v[8:11], a[192:193], a[120:121], 0// 00000000FB44: D3F30008 1A02F1C0
	buffer_load_dword v84, s[20:23], 0 offen lds               // 00000000FB4C: E0511000 80050054
	s_add_u32 m0, 0xf00, s48                                   // 00000000FB54: 807C30FF 00000F00
	v_mfma_f32_16x16x32_fp8_fp8 v[8:11], a[194:195], a[122:123], v[8:11]// 00000000FB5C: D3F30008 1C22F5C2
	v_mfma_f32_16x16x32_fp8_fp8 v[8:11], a[196:197], a[124:125], v[8:11]// 00000000FB64: D3F30008 1C22F9C4
	buffer_load_dword v85, s[20:23], 0 offen lds               // 00000000FB6C: E0511000 80050055
	s_add_u32 m0, 0x1000, s48                                  // 00000000FB74: 807C30FF 00001000
	v_mfma_f32_16x16x32_fp8_fp8 v[8:11], a[198:199], a[126:127], v[8:11]// 00000000FB7C: D3F30008 1C22FDC6
	v_fma_f32 v148, v12, v4, v148                              // 00000000FB84: D1CB0094 0652090C
	v_fma_f32 v149, v13, v4, v149                              // 00000000FB8C: D1CB0095 0656090D
	v_fma_f32 v150, v14, v4, v150                              // 00000000FB94: D1CB0096 065A090E
	v_fma_f32 v151, v15, v4, v151                              // 00000000FB9C: D1CB0097 065E090F
	v_mfma_f32_16x16x32_fp8_fp8 v[12:15], a[200:201], a[120:121], 0// 00000000FBA4: D3F3000C 1A02F1C8
	buffer_load_dword v86, s[20:23], 0 offen lds               // 00000000FBAC: E0511000 80050056
	s_add_u32 m0, 0x1100, s48                                  // 00000000FBB4: 807C30FF 00001100
	v_mfma_f32_16x16x32_fp8_fp8 v[12:15], a[202:203], a[122:123], v[12:15]// 00000000FBBC: D3F3000C 1C32F5CA
	v_mfma_f32_16x16x32_fp8_fp8 v[12:15], a[204:205], a[124:125], v[12:15]// 00000000FBC4: D3F3000C 1C32F9CC
	buffer_load_dword v87, s[20:23], 0 offen lds               // 00000000FBCC: E0511000 80050057
	s_add_u32 m0, 0x1200, s48                                  // 00000000FBD4: 807C30FF 00001200
	v_mfma_f32_16x16x32_fp8_fp8 v[12:15], a[206:207], a[126:127], v[12:15]// 00000000FBDC: D3F3000C 1C32FDCE
	v_fma_f32 v112, v8, v6, v112                               // 00000000FBE4: D1CB0070 05C20D08
	v_fma_f32 v113, v9, v6, v113                               // 00000000FBEC: D1CB0071 05C60D09
	v_fma_f32 v114, v10, v6, v114                              // 00000000FBF4: D1CB0072 05CA0D0A
	v_fma_f32 v115, v11, v6, v115                              // 00000000FBFC: D1CB0073 05CE0D0B
	v_mul_f32_dpp v4, v25, v56 row_newbcast:0 row_mask:0xf bank_mask:0xf// 00000000FC04: 0A0870FA FF015019
	v_mfma_f32_16x16x32_fp8_fp8 v[8:11], a[192:193], a[128:129], 0// 00000000FC0C: D3F30008 1A0301C0
	buffer_load_dword v88, s[20:23], 0 offen lds               // 00000000FC14: E0511000 80050058
	s_add_u32 m0, 0x1300, s48                                  // 00000000FC1C: 807C30FF 00001300
	v_mfma_f32_16x16x32_fp8_fp8 v[8:11], a[194:195], a[130:131], v[8:11]// 00000000FC24: D3F30008 1C2305C2
	v_mfma_f32_16x16x32_fp8_fp8 v[8:11], a[196:197], a[132:133], v[8:11]// 00000000FC2C: D3F30008 1C2309C4
	buffer_load_dword v89, s[20:23], 0 offen lds               // 00000000FC34: E0511000 80050059
	s_add_u32 m0, 0, s49                                       // 00000000FC3C: 807C3180
	v_mfma_f32_16x16x32_fp8_fp8 v[8:11], a[198:199], a[134:135], v[8:11]// 00000000FC40: D3F30008 1C230DC6
	v_fma_f32 v152, v12, v6, v152                              // 00000000FC48: D1CB0098 06620D0C
	v_fma_f32 v153, v13, v6, v153                              // 00000000FC50: D1CB0099 06660D0D
	v_fma_f32 v154, v14, v6, v154                              // 00000000FC58: D1CB009A 066A0D0E
	v_fma_f32 v155, v15, v6, v155                              // 00000000FC60: D1CB009B 066E0D0F
	v_mfma_f32_16x16x32_fp8_fp8 v[12:15], a[200:201], a[128:129], 0// 00000000FC68: D3F3000C 1A0301C8
	buffer_load_dword v40, v30, s[28:31], 0 offen              // 00000000FC70: E0501000 8007281E
	v_mfma_f32_16x16x32_fp8_fp8 v[12:15], a[202:203], a[130:131], v[12:15]// 00000000FC78: D3F3000C 1C3305CA
	v_mfma_f32_16x16x32_fp8_fp8 v[12:15], a[204:205], a[132:133], v[12:15]// 00000000FC80: D3F3000C 1C3309CC
	buffer_load_dword v41, v31, s[28:31], 0 offen              // 00000000FC88: E0501000 8007291F
	v_mfma_f32_16x16x32_fp8_fp8 v[12:15], a[206:207], a[134:135], v[12:15]// 00000000FC90: D3F3000C 1C330DCE
	v_fma_f32 v116, v8, v4, v116                               // 00000000FC98: D1CB0074 05D20908
	v_fma_f32 v117, v9, v4, v117                               // 00000000FCA0: D1CB0075 05D60909
	v_fma_f32 v118, v10, v4, v118                              // 00000000FCA8: D1CB0076 05DA090A
	v_fma_f32 v119, v11, v4, v119                              // 00000000FCB0: D1CB0077 05DE090B
	v_mul_f32_dpp v6, v25, v57 row_newbcast:0 row_mask:0xf bank_mask:0xf// 00000000FCB8: 0A0C72FA FF015019
	v_mfma_f32_16x16x32_fp8_fp8 v[8:11], a[192:193], a[136:137], 0// 00000000FCC0: D3F30008 1A0311C0
	buffer_load_dword v42, v32, s[28:31], 0 offen              // 00000000FCC8: E0501000 80072A20
	v_mfma_f32_16x16x32_fp8_fp8 v[8:11], a[194:195], a[138:139], v[8:11]// 00000000FCD0: D3F30008 1C2315C2
	v_mfma_f32_16x16x32_fp8_fp8 v[8:11], a[196:197], a[140:141], v[8:11]// 00000000FCD8: D3F30008 1C2319C4
	buffer_load_dword v43, v33, s[28:31], 0 offen              // 00000000FCE0: E0501000 80072B21
	v_mfma_f32_16x16x32_fp8_fp8 v[8:11], a[198:199], a[142:143], v[8:11]// 00000000FCE8: D3F30008 1C231DC6
	v_fma_f32 v156, v12, v4, v156                              // 00000000FCF0: D1CB009C 0672090C
	v_fma_f32 v157, v13, v4, v157                              // 00000000FCF8: D1CB009D 0676090D
	v_fma_f32 v158, v14, v4, v158                              // 00000000FD00: D1CB009E 067A090E
	v_fma_f32 v159, v15, v4, v159                              // 00000000FD08: D1CB009F 067E090F
	v_mfma_f32_16x16x32_fp8_fp8 v[12:15], a[200:201], a[136:137], 0// 00000000FD10: D3F3000C 1A0311C8
	buffer_load_dword v44, v34, s[28:31], 0 offen              // 00000000FD18: E0501000 80072C22
	v_mfma_f32_16x16x32_fp8_fp8 v[12:15], a[202:203], a[138:139], v[12:15]// 00000000FD20: D3F3000C 1C3315CA
	v_mfma_f32_16x16x32_fp8_fp8 v[12:15], a[204:205], a[140:141], v[12:15]// 00000000FD28: D3F3000C 1C3319CC
	buffer_load_dword v45, v35, s[28:31], 0 offen              // 00000000FD30: E0501000 80072D23
	v_mfma_f32_16x16x32_fp8_fp8 v[12:15], a[206:207], a[142:143], v[12:15]// 00000000FD38: D3F3000C 1C331DCE
	v_fma_f32 v120, v8, v6, v120                               // 00000000FD40: D1CB0078 05E20D08
	v_fma_f32 v121, v9, v6, v121                               // 00000000FD48: D1CB0079 05E60D09
	v_fma_f32 v122, v10, v6, v122                              // 00000000FD50: D1CB007A 05EA0D0A
	v_fma_f32 v123, v11, v6, v123                              // 00000000FD58: D1CB007B 05EE0D0B
	v_mul_f32_dpp v4, v25, v58 row_newbcast:0 row_mask:0xf bank_mask:0xf// 00000000FD60: 0A0874FA FF015019
	v_mfma_f32_16x16x32_fp8_fp8 v[8:11], a[192:193], a[144:145], 0// 00000000FD68: D3F30008 1A0321C0
	buffer_load_dword v46, v36, s[28:31], 0 offen              // 00000000FD70: E0501000 80072E24
	v_mfma_f32_16x16x32_fp8_fp8 v[8:11], a[194:195], a[146:147], v[8:11]// 00000000FD78: D3F30008 1C2325C2
	v_mfma_f32_16x16x32_fp8_fp8 v[8:11], a[196:197], a[148:149], v[8:11]// 00000000FD80: D3F30008 1C2329C4
	buffer_load_dword v47, v37, s[28:31], 0 offen              // 00000000FD88: E0501000 80072F25
	v_mfma_f32_16x16x32_fp8_fp8 v[8:11], a[198:199], a[150:151], v[8:11]// 00000000FD90: D3F30008 1C232DC6
	v_fma_f32 v160, v12, v6, v160                              // 00000000FD98: D1CB00A0 06820D0C
	v_fma_f32 v161, v13, v6, v161                              // 00000000FDA0: D1CB00A1 06860D0D
	v_fma_f32 v162, v14, v6, v162                              // 00000000FDA8: D1CB00A2 068A0D0E
	v_fma_f32 v163, v15, v6, v163                              // 00000000FDB0: D1CB00A3 068E0D0F
	v_mfma_f32_16x16x32_fp8_fp8 v[12:15], a[200:201], a[144:145], 0// 00000000FDB8: D3F3000C 1A0321C8
	buffer_load_dword v48, v38, s[28:31], 0 offen              // 00000000FDC0: E0501000 80073026
	v_mfma_f32_16x16x32_fp8_fp8 v[12:15], a[202:203], a[146:147], v[12:15]// 00000000FDC8: D3F3000C 1C3325CA
	v_mfma_f32_16x16x32_fp8_fp8 v[12:15], a[204:205], a[148:149], v[12:15]// 00000000FDD0: D3F3000C 1C3329CC
	buffer_load_dword v49, v39, s[28:31], 0 offen              // 00000000FDD8: E0501000 80073127
	v_mfma_f32_16x16x32_fp8_fp8 v[12:15], a[206:207], a[150:151], v[12:15]// 00000000FDE0: D3F3000C 1C332DCE
	v_fma_f32 v124, v8, v4, v124                               // 00000000FDE8: D1CB007C 05F20908
	v_fma_f32 v125, v9, v4, v125                               // 00000000FDF0: D1CB007D 05F60909
	v_fma_f32 v126, v10, v4, v126                              // 00000000FDF8: D1CB007E 05FA090A
	v_fma_f32 v127, v11, v4, v127                              // 00000000FE00: D1CB007F 05FE090B
	v_mul_f32_dpp v6, v25, v59 row_newbcast:0 row_mask:0xf bank_mask:0xf// 00000000FE08: 0A0C76FA FF015019
	v_mfma_f32_16x16x32_fp8_fp8 v[8:11], a[192:193], a[152:153], 0// 00000000FE10: D3F30008 1A0331C0
	v_mfma_f32_16x16x32_fp8_fp8 v[8:11], a[194:195], a[154:155], v[8:11]// 00000000FE18: D3F30008 1C2335C2
	v_mfma_f32_16x16x32_fp8_fp8 v[8:11], a[196:197], a[156:157], v[8:11]// 00000000FE20: D3F30008 1C2339C4
	v_mfma_f32_16x16x32_fp8_fp8 v[8:11], a[198:199], a[158:159], v[8:11]// 00000000FE28: D3F30008 1C233DC6
	v_fma_f32 v164, v12, v4, v164                              // 00000000FE30: D1CB00A4 0692090C
	v_fma_f32 v165, v13, v4, v165                              // 00000000FE38: D1CB00A5 0696090D
	v_fma_f32 v166, v14, v4, v166                              // 00000000FE40: D1CB00A6 069A090E
	v_fma_f32 v167, v15, v4, v167                              // 00000000FE48: D1CB00A7 069E090F
	v_mfma_f32_16x16x32_fp8_fp8 v[12:15], a[200:201], a[152:153], 0// 00000000FE50: D3F3000C 1A0331C8
	v_mfma_f32_16x16x32_fp8_fp8 v[12:15], a[202:203], a[154:155], v[12:15]// 00000000FE58: D3F3000C 1C3335CA
	v_mfma_f32_16x16x32_fp8_fp8 v[12:15], a[204:205], a[156:157], v[12:15]// 00000000FE60: D3F3000C 1C3339CC
	v_mfma_f32_16x16x32_fp8_fp8 v[12:15], a[206:207], a[158:159], v[12:15]// 00000000FE68: D3F3000C 1C333DCE
	v_fma_f32 v128, v8, v6, v128                               // 00000000FE70: D1CB0080 06020D08
	v_fma_f32 v129, v9, v6, v129                               // 00000000FE78: D1CB0081 06060D09
	v_fma_f32 v130, v10, v6, v130                              // 00000000FE80: D1CB0082 060A0D0A
	v_fma_f32 v131, v11, v6, v131                              // 00000000FE88: D1CB0083 060E0D0B
	v_fma_f32 v168, v12, v6, v168                              // 00000000FE90: D1CB00A8 06A20D0C
	v_fma_f32 v169, v13, v6, v169                              // 00000000FE98: D1CB00A9 06A60D0D
	v_fma_f32 v170, v14, v6, v170                              // 00000000FEA0: D1CB00AA 06AA0D0E
	v_fma_f32 v171, v15, v6, v171                              // 00000000FEA8: D1CB00AB 06AE0D0F
	s_waitcnt vmcnt(35)                                        // 00000000FEB0: BF8C8F73
	s_barrier                                                  // 00000000FEB4: BF8A0000
	v_mul_f32_dpp v4, v28, v50 row_newbcast:0 row_mask:0xf bank_mask:0xf// 00000000FEB8: 0A0864FA FF01501C
	v_mfma_f32_16x16x32_fp8_fp8 v[8:11], a[160:161], a[80:81], 0// 00000000FEC0: D3F30008 1A02A1A0
	buffer_load_dword v29, v23, s[32:35], 0 offen              // 00000000FEC8: E0501000 80081D17
	buffer_load_dwordx4 a[192:195], v90, s[84:87], 0 offen     // 00000000FED0: E05C1000 8095C05A
	v_mfma_f32_16x16x32_fp8_fp8 v[8:11], a[162:163], a[82:83], v[8:11]// 00000000FED8: D3F30008 1C22A5A2
	v_mfma_f32_16x16x32_fp8_fp8 v[8:11], a[164:165], a[84:85], v[8:11]// 00000000FEE0: D3F30008 1C22A9A4
	ds_read_b128 a[0:3], v2 offset:41216                       // 00000000FEE8: DBFEA100 00000002
	ds_read_b128 a[4:7], v2 offset:41280                       // 00000000FEF0: DBFEA140 04000002
	v_mfma_f32_16x16x32_fp8_fp8 v[8:11], a[166:167], a[86:87], v[8:11]// 00000000FEF8: D3F30008 1C22ADA6
	v_mfma_f32_16x16x32_fp8_fp8 v[12:15], a[168:169], a[80:81], 0// 00000000FF00: D3F3000C 1A02A1A8
	buffer_load_dwordx4 a[196:199], v90, s[84:87], 0 offen offset:1024// 00000000FF08: E05C1400 8095C45A
	v_mfma_f32_16x16x32_fp8_fp8 v[12:15], a[170:171], a[82:83], v[12:15]// 00000000FF10: D3F3000C 1C32A5AA
	v_mfma_f32_16x16x32_fp8_fp8 v[12:15], a[172:173], a[84:85], v[12:15]// 00000000FF18: D3F3000C 1C32A9AC
	ds_read_b128 a[8:11], v2 offset:41728                      // 00000000FF20: DBFEA300 08000002
	ds_read_b128 a[12:15], v2 offset:41792                     // 00000000FF28: DBFEA340 0C000002
	v_mfma_f32_16x16x32_fp8_fp8 v[12:15], a[174:175], a[86:87], v[12:15]// 00000000FF30: D3F3000C 1C32ADAE
	v_fma_f32 v172, v8, v4, v172                               // 00000000FF38: D1CB00AC 06B20908
	v_fma_f32 v173, v9, v4, v173                               // 00000000FF40: D1CB00AD 06B60909
	v_fma_f32 v174, v10, v4, v174                              // 00000000FF48: D1CB00AE 06BA090A
	v_fma_f32 v175, v11, v4, v175                              // 00000000FF50: D1CB00AF 06BE090B
	v_mul_f32_dpp v6, v28, v51 row_newbcast:0 row_mask:0xf bank_mask:0xf// 00000000FF58: 0A0C66FA FF01501C
	v_mfma_f32_16x16x32_fp8_fp8 v[8:11], a[160:161], a[88:89], 0// 00000000FF60: D3F30008 1A02B1A0
	buffer_load_dwordx4 a[200:203], v91, s[84:87], 0 offen     // 00000000FF68: E05C1000 8095C85B
	v_mfma_f32_16x16x32_fp8_fp8 v[8:11], a[162:163], a[90:91], v[8:11]// 00000000FF70: D3F30008 1C22B5A2
	v_mfma_f32_16x16x32_fp8_fp8 v[8:11], a[164:165], a[92:93], v[8:11]// 00000000FF78: D3F30008 1C22B9A4
	ds_read_b128 a[16:19], v2 offset:42240                     // 00000000FF80: DBFEA500 10000002
	ds_read_b128 a[20:23], v2 offset:42304                     // 00000000FF88: DBFEA540 14000002
	v_mfma_f32_16x16x32_fp8_fp8 v[8:11], a[166:167], a[94:95], v[8:11]// 00000000FF90: D3F30008 1C22BDA6
	v_fma_f32 v212, v12, v4, v212                              // 00000000FF98: D1CB00D4 0752090C
	v_fma_f32 v213, v13, v4, v213                              // 00000000FFA0: D1CB00D5 0756090D
	v_fma_f32 v214, v14, v4, v214                              // 00000000FFA8: D1CB00D6 075A090E
	v_fma_f32 v215, v15, v4, v215                              // 00000000FFB0: D1CB00D7 075E090F
	v_mfma_f32_16x16x32_fp8_fp8 v[12:15], a[168:169], a[88:89], 0// 00000000FFB8: D3F3000C 1A02B1A8
	buffer_load_dwordx4 a[204:207], v91, s[84:87], 0 offen offset:1024// 00000000FFC0: E05C1400 8095CC5B
	v_mfma_f32_16x16x32_fp8_fp8 v[12:15], a[170:171], a[90:91], v[12:15]// 00000000FFC8: D3F3000C 1C32B5AA
	v_mfma_f32_16x16x32_fp8_fp8 v[12:15], a[172:173], a[92:93], v[12:15]// 00000000FFD0: D3F3000C 1C32B9AC
	ds_read_b128 a[24:27], v2 offset:42752                     // 00000000FFD8: DBFEA700 18000002
	ds_read_b128 a[28:31], v2 offset:42816                     // 00000000FFE0: DBFEA740 1C000002
	v_mfma_f32_16x16x32_fp8_fp8 v[12:15], a[174:175], a[94:95], v[12:15]// 00000000FFE8: D3F3000C 1C32BDAE
	v_fma_f32 v176, v8, v6, v176                               // 00000000FFF0: D1CB00B0 06C20D08
	v_fma_f32 v177, v9, v6, v177                               // 00000000FFF8: D1CB00B1 06C60D09
	v_fma_f32 v178, v10, v6, v178                              // 000000010000: D1CB00B2 06CA0D0A
	v_fma_f32 v179, v11, v6, v179                              // 000000010008: D1CB00B3 06CE0D0B
	v_mul_f32_dpp v4, v28, v52 row_newbcast:0 row_mask:0xf bank_mask:0xf// 000000010010: 0A0868FA FF01501C
	v_mfma_f32_16x16x32_fp8_fp8 v[8:11], a[160:161], a[96:97], 0// 000000010018: D3F30008 1A02C1A0
	v_mfma_f32_16x16x32_fp8_fp8 v[8:11], a[162:163], a[98:99], v[8:11]// 000000010020: D3F30008 1C22C5A2
	v_mfma_f32_16x16x32_fp8_fp8 v[8:11], a[164:165], a[100:101], v[8:11]// 000000010028: D3F30008 1C22C9A4
	ds_read_b128 a[32:35], v2 offset:43264                     // 000000010030: DBFEA900 20000002
	ds_read_b128 a[36:39], v2 offset:43328                     // 000000010038: DBFEA940 24000002
	v_mfma_f32_16x16x32_fp8_fp8 v[8:11], a[166:167], a[102:103], v[8:11]// 000000010040: D3F30008 1C22CDA6
	v_fma_f32 v216, v12, v6, v216                              // 000000010048: D1CB00D8 07620D0C
	v_fma_f32 v217, v13, v6, v217                              // 000000010050: D1CB00D9 07660D0D
	v_fma_f32 v218, v14, v6, v218                              // 000000010058: D1CB00DA 076A0D0E
	v_fma_f32 v219, v15, v6, v219                              // 000000010060: D1CB00DB 076E0D0F
	v_mfma_f32_16x16x32_fp8_fp8 v[12:15], a[168:169], a[96:97], 0// 000000010068: D3F3000C 1A02C1A8
	v_mfma_f32_16x16x32_fp8_fp8 v[12:15], a[170:171], a[98:99], v[12:15]// 000000010070: D3F3000C 1C32C5AA
	v_mfma_f32_16x16x32_fp8_fp8 v[12:15], a[172:173], a[100:101], v[12:15]// 000000010078: D3F3000C 1C32C9AC
	ds_read_b128 a[40:43], v2 offset:43776                     // 000000010080: DBFEAB00 28000002
	ds_read_b128 a[44:47], v2 offset:43840                     // 000000010088: DBFEAB40 2C000002
	v_mfma_f32_16x16x32_fp8_fp8 v[12:15], a[174:175], a[102:103], v[12:15]// 000000010090: D3F3000C 1C32CDAE
	v_fma_f32 v180, v8, v4, v180                               // 000000010098: D1CB00B4 06D20908
	v_fma_f32 v181, v9, v4, v181                               // 0000000100A0: D1CB00B5 06D60909
	v_fma_f32 v182, v10, v4, v182                              // 0000000100A8: D1CB00B6 06DA090A
	v_fma_f32 v183, v11, v4, v183                              // 0000000100B0: D1CB00B7 06DE090B
	v_mul_f32_dpp v6, v28, v53 row_newbcast:0 row_mask:0xf bank_mask:0xf// 0000000100B8: 0A0C6AFA FF01501C
	v_mfma_f32_16x16x32_fp8_fp8 v[8:11], a[160:161], a[104:105], 0// 0000000100C0: D3F30008 1A02D1A0
	v_mfma_f32_16x16x32_fp8_fp8 v[8:11], a[162:163], a[106:107], v[8:11]// 0000000100C8: D3F30008 1C22D5A2
	v_mfma_f32_16x16x32_fp8_fp8 v[8:11], a[164:165], a[108:109], v[8:11]// 0000000100D0: D3F30008 1C22D9A4
	ds_read_b128 a[48:51], v2 offset:44288                     // 0000000100D8: DBFEAD00 30000002
	ds_read_b128 a[52:55], v2 offset:44352                     // 0000000100E0: DBFEAD40 34000002
	v_mfma_f32_16x16x32_fp8_fp8 v[8:11], a[166:167], a[110:111], v[8:11]// 0000000100E8: D3F30008 1C22DDA6
	v_fma_f32 v220, v12, v4, v220                              // 0000000100F0: D1CB00DC 0772090C
	v_fma_f32 v221, v13, v4, v221                              // 0000000100F8: D1CB00DD 0776090D
	v_fma_f32 v222, v14, v4, v222                              // 000000010100: D1CB00DE 077A090E
	v_fma_f32 v223, v15, v4, v223                              // 000000010108: D1CB00DF 077E090F
	v_mfma_f32_16x16x32_fp8_fp8 v[12:15], a[168:169], a[104:105], 0// 000000010110: D3F3000C 1A02D1A8
	v_mfma_f32_16x16x32_fp8_fp8 v[12:15], a[170:171], a[106:107], v[12:15]// 000000010118: D3F3000C 1C32D5AA
	v_mfma_f32_16x16x32_fp8_fp8 v[12:15], a[172:173], a[108:109], v[12:15]// 000000010120: D3F3000C 1C32D9AC
	ds_read_b128 a[56:59], v2 offset:44800                     // 000000010128: DBFEAF00 38000002
	ds_read_b128 a[60:63], v2 offset:44864                     // 000000010130: DBFEAF40 3C000002
	v_mfma_f32_16x16x32_fp8_fp8 v[12:15], a[174:175], a[110:111], v[12:15]// 000000010138: D3F3000C 1C32DDAE
	v_fma_f32 v184, v8, v6, v184                               // 000000010140: D1CB00B8 06E20D08
	v_fma_f32 v185, v9, v6, v185                               // 000000010148: D1CB00B9 06E60D09
	v_fma_f32 v186, v10, v6, v186                              // 000000010150: D1CB00BA 06EA0D0A
	v_fma_f32 v187, v11, v6, v187                              // 000000010158: D1CB00BB 06EE0D0B
	v_mul_f32_dpp v4, v28, v54 row_newbcast:0 row_mask:0xf bank_mask:0xf// 000000010160: 0A086CFA FF01501C
	v_mfma_f32_16x16x32_fp8_fp8 v[8:11], a[160:161], a[112:113], 0// 000000010168: D3F30008 1A02E1A0
	v_mfma_f32_16x16x32_fp8_fp8 v[8:11], a[162:163], a[114:115], v[8:11]// 000000010170: D3F30008 1C22E5A2
	v_mfma_f32_16x16x32_fp8_fp8 v[8:11], a[164:165], a[116:117], v[8:11]// 000000010178: D3F30008 1C22E9A4
	ds_read_b128 a[64:67], v2 offset:45312                     // 000000010180: DBFEB100 40000002
	ds_read_b128 a[68:71], v2 offset:45376                     // 000000010188: DBFEB140 44000002
	v_mfma_f32_16x16x32_fp8_fp8 v[8:11], a[166:167], a[118:119], v[8:11]// 000000010190: D3F30008 1C22EDA6
	v_fma_f32 v224, v12, v6, v224                              // 000000010198: D1CB00E0 07820D0C
	v_fma_f32 v225, v13, v6, v225                              // 0000000101A0: D1CB00E1 07860D0D
	v_fma_f32 v226, v14, v6, v226                              // 0000000101A8: D1CB00E2 078A0D0E
	v_fma_f32 v227, v15, v6, v227                              // 0000000101B0: D1CB00E3 078E0D0F
	v_mfma_f32_16x16x32_fp8_fp8 v[12:15], a[168:169], a[112:113], 0// 0000000101B8: D3F3000C 1A02E1A8
	v_mfma_f32_16x16x32_fp8_fp8 v[12:15], a[170:171], a[114:115], v[12:15]// 0000000101C0: D3F3000C 1C32E5AA
	v_mfma_f32_16x16x32_fp8_fp8 v[12:15], a[172:173], a[116:117], v[12:15]// 0000000101C8: D3F3000C 1C32E9AC
	ds_read_b128 a[72:75], v2 offset:45824                     // 0000000101D0: DBFEB300 48000002
	ds_read_b128 a[76:79], v2 offset:45888                     // 0000000101D8: DBFEB340 4C000002
	v_mfma_f32_16x16x32_fp8_fp8 v[12:15], a[174:175], a[118:119], v[12:15]// 0000000101E0: D3F3000C 1C32EDAE
	v_fma_f32 v188, v8, v4, v188                               // 0000000101E8: D1CB00BC 06F20908
	v_fma_f32 v189, v9, v4, v189                               // 0000000101F0: D1CB00BD 06F60909
	v_fma_f32 v190, v10, v4, v190                              // 0000000101F8: D1CB00BE 06FA090A
	v_fma_f32 v191, v11, v4, v191                              // 000000010200: D1CB00BF 06FE090B
	v_mul_f32_dpp v6, v28, v55 row_newbcast:0 row_mask:0xf bank_mask:0xf// 000000010208: 0A0C6EFA FF01501C
	v_mfma_f32_16x16x32_fp8_fp8 v[8:11], a[160:161], a[120:121], 0// 000000010210: D3F30008 1A02F1A0
	v_mfma_f32_16x16x32_fp8_fp8 v[8:11], a[162:163], a[122:123], v[8:11]// 000000010218: D3F30008 1C22F5A2
	v_mfma_f32_16x16x32_fp8_fp8 v[8:11], a[164:165], a[124:125], v[8:11]// 000000010220: D3F30008 1C22F9A4
	v_mfma_f32_16x16x32_fp8_fp8 v[8:11], a[166:167], a[126:127], v[8:11]// 000000010228: D3F30008 1C22FDA6
	v_fma_f32 v228, v12, v4, v228                              // 000000010230: D1CB00E4 0792090C
	v_fma_f32 v229, v13, v4, v229                              // 000000010238: D1CB00E5 0796090D
	v_fma_f32 v230, v14, v4, v230                              // 000000010240: D1CB00E6 079A090E
	v_fma_f32 v231, v15, v4, v231                              // 000000010248: D1CB00E7 079E090F
	v_mfma_f32_16x16x32_fp8_fp8 v[12:15], a[168:169], a[120:121], 0// 000000010250: D3F3000C 1A02F1A8
	v_mfma_f32_16x16x32_fp8_fp8 v[12:15], a[170:171], a[122:123], v[12:15]// 000000010258: D3F3000C 1C32F5AA
	v_mfma_f32_16x16x32_fp8_fp8 v[12:15], a[172:173], a[124:125], v[12:15]// 000000010260: D3F3000C 1C32F9AC
	v_mfma_f32_16x16x32_fp8_fp8 v[12:15], a[174:175], a[126:127], v[12:15]// 000000010268: D3F3000C 1C32FDAE
	v_fma_f32 v192, v8, v6, v192                               // 000000010270: D1CB00C0 07020D08
	v_fma_f32 v193, v9, v6, v193                               // 000000010278: D1CB00C1 07060D09
	v_fma_f32 v194, v10, v6, v194                              // 000000010280: D1CB00C2 070A0D0A
	v_fma_f32 v195, v11, v6, v195                              // 000000010288: D1CB00C3 070E0D0B
	v_mul_f32_dpp v4, v28, v56 row_newbcast:0 row_mask:0xf bank_mask:0xf// 000000010290: 0A0870FA FF01501C
	v_mfma_f32_16x16x32_fp8_fp8 v[8:11], a[160:161], a[128:129], 0// 000000010298: D3F30008 1A0301A0
	v_mfma_f32_16x16x32_fp8_fp8 v[8:11], a[162:163], a[130:131], v[8:11]// 0000000102A0: D3F30008 1C2305A2
	v_mfma_f32_16x16x32_fp8_fp8 v[8:11], a[164:165], a[132:133], v[8:11]// 0000000102A8: D3F30008 1C2309A4
	v_mfma_f32_16x16x32_fp8_fp8 v[8:11], a[166:167], a[134:135], v[8:11]// 0000000102B0: D3F30008 1C230DA6
	v_fma_f32 v232, v12, v6, v232                              // 0000000102B8: D1CB00E8 07A20D0C
	v_fma_f32 v233, v13, v6, v233                              // 0000000102C0: D1CB00E9 07A60D0D
	v_fma_f32 v234, v14, v6, v234                              // 0000000102C8: D1CB00EA 07AA0D0E
	v_fma_f32 v235, v15, v6, v235                              // 0000000102D0: D1CB00EB 07AE0D0F
	v_mfma_f32_16x16x32_fp8_fp8 v[12:15], a[168:169], a[128:129], 0// 0000000102D8: D3F3000C 1A0301A8
	v_mfma_f32_16x16x32_fp8_fp8 v[12:15], a[170:171], a[130:131], v[12:15]// 0000000102E0: D3F3000C 1C3305AA
	v_mfma_f32_16x16x32_fp8_fp8 v[12:15], a[172:173], a[132:133], v[12:15]// 0000000102E8: D3F3000C 1C3309AC
	v_mfma_f32_16x16x32_fp8_fp8 v[12:15], a[174:175], a[134:135], v[12:15]// 0000000102F0: D3F3000C 1C330DAE
	v_fma_f32 v196, v8, v4, v196                               // 0000000102F8: D1CB00C4 07120908
	v_fma_f32 v197, v9, v4, v197                               // 000000010300: D1CB00C5 07160909
	v_fma_f32 v198, v10, v4, v198                              // 000000010308: D1CB00C6 071A090A
	v_fma_f32 v199, v11, v4, v199                              // 000000010310: D1CB00C7 071E090B
	v_mul_f32_dpp v6, v28, v57 row_newbcast:0 row_mask:0xf bank_mask:0xf// 000000010318: 0A0C72FA FF01501C
	v_mfma_f32_16x16x32_fp8_fp8 v[8:11], a[160:161], a[136:137], 0// 000000010320: D3F30008 1A0311A0
	v_mfma_f32_16x16x32_fp8_fp8 v[8:11], a[162:163], a[138:139], v[8:11]// 000000010328: D3F30008 1C2315A2
	v_mfma_f32_16x16x32_fp8_fp8 v[8:11], a[164:165], a[140:141], v[8:11]// 000000010330: D3F30008 1C2319A4
	v_mfma_f32_16x16x32_fp8_fp8 v[8:11], a[166:167], a[142:143], v[8:11]// 000000010338: D3F30008 1C231DA6
	v_fma_f32 v236, v12, v4, v236                              // 000000010340: D1CB00EC 07B2090C
	v_fma_f32 v237, v13, v4, v237                              // 000000010348: D1CB00ED 07B6090D
	v_fma_f32 v238, v14, v4, v238                              // 000000010350: D1CB00EE 07BA090E
	v_fma_f32 v239, v15, v4, v239                              // 000000010358: D1CB00EF 07BE090F
	v_mfma_f32_16x16x32_fp8_fp8 v[12:15], a[168:169], a[136:137], 0// 000000010360: D3F3000C 1A0311A8
	v_mfma_f32_16x16x32_fp8_fp8 v[12:15], a[170:171], a[138:139], v[12:15]// 000000010368: D3F3000C 1C3315AA
	v_mfma_f32_16x16x32_fp8_fp8 v[12:15], a[172:173], a[140:141], v[12:15]// 000000010370: D3F3000C 1C3319AC
	v_mfma_f32_16x16x32_fp8_fp8 v[12:15], a[174:175], a[142:143], v[12:15]// 000000010378: D3F3000C 1C331DAE
	v_fma_f32 v200, v8, v6, v200                               // 000000010380: D1CB00C8 07220D08
	v_fma_f32 v201, v9, v6, v201                               // 000000010388: D1CB00C9 07260D09
	v_fma_f32 v202, v10, v6, v202                              // 000000010390: D1CB00CA 072A0D0A
	v_fma_f32 v203, v11, v6, v203                              // 000000010398: D1CB00CB 072E0D0B
	v_mul_f32_dpp v4, v28, v58 row_newbcast:0 row_mask:0xf bank_mask:0xf// 0000000103A0: 0A0874FA FF01501C
	v_mfma_f32_16x16x32_fp8_fp8 v[8:11], a[160:161], a[144:145], 0// 0000000103A8: D3F30008 1A0321A0
	v_mfma_f32_16x16x32_fp8_fp8 v[8:11], a[162:163], a[146:147], v[8:11]// 0000000103B0: D3F30008 1C2325A2
	v_mfma_f32_16x16x32_fp8_fp8 v[8:11], a[164:165], a[148:149], v[8:11]// 0000000103B8: D3F30008 1C2329A4
	v_mfma_f32_16x16x32_fp8_fp8 v[8:11], a[166:167], a[150:151], v[8:11]// 0000000103C0: D3F30008 1C232DA6
	v_fma_f32 v240, v12, v6, v240                              // 0000000103C8: D1CB00F0 07C20D0C
	v_fma_f32 v241, v13, v6, v241                              // 0000000103D0: D1CB00F1 07C60D0D
	v_fma_f32 v242, v14, v6, v242                              // 0000000103D8: D1CB00F2 07CA0D0E
	v_fma_f32 v243, v15, v6, v243                              // 0000000103E0: D1CB00F3 07CE0D0F
	v_mfma_f32_16x16x32_fp8_fp8 v[12:15], a[168:169], a[144:145], 0// 0000000103E8: D3F3000C 1A0321A8
	v_mfma_f32_16x16x32_fp8_fp8 v[12:15], a[170:171], a[146:147], v[12:15]// 0000000103F0: D3F3000C 1C3325AA
	v_mfma_f32_16x16x32_fp8_fp8 v[12:15], a[172:173], a[148:149], v[12:15]// 0000000103F8: D3F3000C 1C3329AC
	v_mfma_f32_16x16x32_fp8_fp8 v[12:15], a[174:175], a[150:151], v[12:15]// 000000010400: D3F3000C 1C332DAE
	v_fma_f32 v204, v8, v4, v204                               // 000000010408: D1CB00CC 07320908
	v_fma_f32 v205, v9, v4, v205                               // 000000010410: D1CB00CD 07360909
	v_fma_f32 v206, v10, v4, v206                              // 000000010418: D1CB00CE 073A090A
	v_fma_f32 v207, v11, v4, v207                              // 000000010420: D1CB00CF 073E090B
	v_mul_f32_dpp v6, v28, v59 row_newbcast:0 row_mask:0xf bank_mask:0xf// 000000010428: 0A0C76FA FF01501C
	v_mfma_f32_16x16x32_fp8_fp8 v[8:11], a[160:161], a[152:153], 0// 000000010430: D3F30008 1A0331A0
	s_add_u32 s60, 0x180, s80                                  // 000000010438: 803C50FF 00000180
	s_cmp_lt_u32 s60, s81                                      // 000000010440: BF0A513C
	s_cselect_b32 s57, s57, 0                                  // 000000010444: 85398039
	s_cselect_b32 s3, s3, 0                                    // 000000010448: 85038003
	v_mfma_f32_16x16x32_fp8_fp8 v[8:11], a[162:163], a[154:155], v[8:11]// 00000001044C: D3F30008 1C2335A2
	s_add_u32 s60, 0x100, s80                                  // 000000010454: 803C50FF 00000100
	s_cmp_lt_u32 s60, s81                                      // 00000001045C: BF0A513C
	s_cselect_b32 s58, s58, 0                                  // 000000010460: 853A803A
	v_mfma_f32_16x16x32_fp8_fp8 v[8:11], a[164:165], a[156:157], v[8:11]// 000000010464: D3F30008 1C2339A4
	s_add_u32 s60, 0x100, s80                                  // 00000001046C: 803C50FF 00000100
	s_cmp_lt_u32 s60, s81                                      // 000000010474: BF0A513C
	s_cselect_b32 s83, s83, 0                                  // 000000010478: 85538053
	s_cselect_b32 s4, s4, 0                                    // 00000001047C: 85048004
	v_mfma_f32_16x16x32_fp8_fp8 v[8:11], a[166:167], a[158:159], v[8:11]// 000000010480: D3F30008 1C233DA6
	s_add_u32 s24, s58, s24                                    // 000000010488: 8018183A
	s_addc_u32 s25, 0, s25                                     // 00000001048C: 82191980
	v_fma_f32 v244, v12, v4, v244                              // 000000010490: D1CB00F4 07D2090C
	v_fma_f32 v245, v13, v4, v245                              // 000000010498: D1CB00F5 07D6090D
	v_fma_f32 v246, v14, v4, v246                              // 0000000104A0: D1CB00F6 07DA090E
	v_fma_f32 v247, v15, v4, v247                              // 0000000104A8: D1CB00F7 07DE090F
	v_mfma_f32_16x16x32_fp8_fp8 v[12:15], a[168:169], a[152:153], 0// 0000000104B0: D3F3000C 1A0331A8
	s_add_u32 s20, s57, s20                                    // 0000000104B8: 80141439
	s_addc_u32 s21, 0, s21                                     // 0000000104BC: 82151580
	s_add_u32 s28, s3, s28                                     // 0000000104C0: 801C1C03
	s_addc_u32 s29, 0, s29                                     // 0000000104C4: 821D1D80
	v_mfma_f32_16x16x32_fp8_fp8 v[12:15], a[170:171], a[154:155], v[12:15]// 0000000104C8: D3F3000C 1C3335AA
	s_add_u32 s84, s83, s84                                    // 0000000104D0: 80545453
	s_addc_u32 s85, 0, s85                                     // 0000000104D4: 82555580
	v_mfma_f32_16x16x32_fp8_fp8 v[12:15], a[172:173], a[156:157], v[12:15]// 0000000104D8: D3F3000C 1C3339AC
	s_add_u32 s32, s4, s32                                     // 0000000104E0: 80202004
	s_addc_u32 s33, 0, s33                                     // 0000000104E4: 82212180
	v_mfma_f32_16x16x32_fp8_fp8 v[12:15], a[174:175], a[158:159], v[12:15]// 0000000104E8: D3F3000C 1C333DAE
	v_fma_f32 v208, v8, v6, v208                               // 0000000104F0: D1CB00D0 07420D08
	v_fma_f32 v209, v9, v6, v209                               // 0000000104F8: D1CB00D1 07460D09
	v_fma_f32 v210, v10, v6, v210                              // 000000010500: D1CB00D2 074A0D0A
	v_fma_f32 v211, v11, v6, v211                              // 000000010508: D1CB00D3 074E0D0B
	v_fma_f32 v248, v12, v6, v248                              // 000000010510: D1CB00F8 07E20D0C
	v_fma_f32 v249, v13, v6, v249                              // 000000010518: D1CB00F9 07E60D0D
	v_fma_f32 v250, v14, v6, v250                              // 000000010520: D1CB00FA 07EA0D0E
	v_fma_f32 v251, v15, v6, v251                              // 000000010528: D1CB00FB 07EE0D0F
	s_addk_i32 s80, 0x80                                       // 000000010530: B7500080
	s_cmp_lt_i32 s80, s81                                      // 000000010534: BF045150
	s_cbranch_scc0 label_4467                                  // 000000010538: BF840D95
	s_waitcnt vmcnt(35) lgkmcnt(0)                             // 00000001053C: BF8C8073
	v_mul_f32_dpp v4, v26, v60 row_newbcast:0 row_mask:0xf bank_mask:0xf// 000000010540: 0A0878FA FF01501A
	v_mfma_f32_16x16x32_fp8_fp8 v[8:11], a[176:177], a[0:1], 0 // 000000010548: D3F30008 1A0201B0
	buffer_load_dword v24, v22, s[32:35], 0 offen              // 000000010550: E0501000 80081816
	buffer_load_dwordx4 a[160:163], v90, s[24:27], 0 offen     // 000000010558: E05C1000 8086A05A
	v_mfma_f32_16x16x32_fp8_fp8 v[8:11], a[178:179], a[2:3], v[8:11]// 000000010560: D3F30008 1C2205B2
	v_mfma_f32_16x16x32_fp8_fp8 v[8:11], a[180:181], a[4:5], v[8:11]// 000000010568: D3F30008 1C2209B4
	v_mfma_f32_16x16x32_fp8_fp8 v[8:11], a[182:183], a[6:7], v[8:11]// 000000010570: D3F30008 1C220DB6
	v_mfma_f32_16x16x32_fp8_fp8 v[12:15], a[184:185], a[0:1], 0// 000000010578: D3F3000C 1A0201B8
	buffer_load_dwordx4 a[164:167], v90, s[24:27], 0 offen offset:1024// 000000010580: E05C1400 8086A45A
	v_mfma_f32_16x16x32_fp8_fp8 v[12:15], a[186:187], a[2:3], v[12:15]// 000000010588: D3F3000C 1C3205BA
	v_mfma_f32_16x16x32_fp8_fp8 v[12:15], a[188:189], a[4:5], v[12:15]// 000000010590: D3F3000C 1C3209BC
	v_mfma_f32_16x16x32_fp8_fp8 v[12:15], a[190:191], a[6:7], v[12:15]// 000000010598: D3F3000C 1C320DBE
	v_fma_f32 v92, v8, v4, v92                                 // 0000000105A0: D1CB005C 05720908
	v_fma_f32 v93, v9, v4, v93                                 // 0000000105A8: D1CB005D 05760909
	v_fma_f32 v94, v10, v4, v94                                // 0000000105B0: D1CB005E 057A090A
	v_fma_f32 v95, v11, v4, v95                                // 0000000105B8: D1CB005F 057E090B
	v_mul_f32_dpp v6, v26, v61 row_newbcast:0 row_mask:0xf bank_mask:0xf// 0000000105C0: 0A0C7AFA FF01501A
	v_mfma_f32_16x16x32_fp8_fp8 v[8:11], a[176:177], a[8:9], 0 // 0000000105C8: D3F30008 1A0211B0
	buffer_load_dwordx4 a[168:171], v91, s[24:27], 0 offen     // 0000000105D0: E05C1000 8086A85B
	v_mfma_f32_16x16x32_fp8_fp8 v[8:11], a[178:179], a[10:11], v[8:11]// 0000000105D8: D3F30008 1C2215B2
	v_mfma_f32_16x16x32_fp8_fp8 v[8:11], a[180:181], a[12:13], v[8:11]// 0000000105E0: D3F30008 1C2219B4
	v_mfma_f32_16x16x32_fp8_fp8 v[8:11], a[182:183], a[14:15], v[8:11]// 0000000105E8: D3F30008 1C221DB6
	v_fma_f32 v132, v12, v4, v132                              // 0000000105F0: D1CB0084 0612090C
	v_fma_f32 v133, v13, v4, v133                              // 0000000105F8: D1CB0085 0616090D
	v_fma_f32 v134, v14, v4, v134                              // 000000010600: D1CB0086 061A090E
	v_fma_f32 v135, v15, v4, v135                              // 000000010608: D1CB0087 061E090F
	v_mfma_f32_16x16x32_fp8_fp8 v[12:15], a[184:185], a[8:9], 0// 000000010610: D3F3000C 1A0211B8
	buffer_load_dwordx4 a[172:175], v91, s[24:27], 0 offen offset:1024// 000000010618: E05C1400 8086AC5B
	buffer_load_dword v70, s[20:23], 0 offen lds               // 000000010620: E0511000 80050046
	s_add_u32 m0, 0x100, s49                                   // 000000010628: 807C31FF 00000100
	v_mfma_f32_16x16x32_fp8_fp8 v[12:15], a[186:187], a[10:11], v[12:15]// 000000010630: D3F3000C 1C3215BA
	v_mfma_f32_16x16x32_fp8_fp8 v[12:15], a[188:189], a[12:13], v[12:15]// 000000010638: D3F3000C 1C3219BC
	buffer_load_dword v71, s[20:23], 0 offen lds               // 000000010640: E0511000 80050047
	s_add_u32 m0, 0x200, s49                                   // 000000010648: 807C31FF 00000200
	v_mfma_f32_16x16x32_fp8_fp8 v[12:15], a[190:191], a[14:15], v[12:15]// 000000010650: D3F3000C 1C321DBE
	v_fma_f32 v96, v8, v6, v96                                 // 000000010658: D1CB0060 05820D08
	v_fma_f32 v97, v9, v6, v97                                 // 000000010660: D1CB0061 05860D09
	v_fma_f32 v98, v10, v6, v98                                // 000000010668: D1CB0062 058A0D0A
	v_fma_f32 v99, v11, v6, v99                                // 000000010670: D1CB0063 058E0D0B
	v_mul_f32_dpp v4, v26, v62 row_newbcast:0 row_mask:0xf bank_mask:0xf// 000000010678: 0A087CFA FF01501A
	v_mfma_f32_16x16x32_fp8_fp8 v[8:11], a[176:177], a[16:17], 0// 000000010680: D3F30008 1A0221B0
	buffer_load_dword v72, s[20:23], 0 offen lds               // 000000010688: E0511000 80050048
	s_add_u32 m0, 0x300, s49                                   // 000000010690: 807C31FF 00000300
	v_mfma_f32_16x16x32_fp8_fp8 v[8:11], a[178:179], a[18:19], v[8:11]// 000000010698: D3F30008 1C2225B2
	v_mfma_f32_16x16x32_fp8_fp8 v[8:11], a[180:181], a[20:21], v[8:11]// 0000000106A0: D3F30008 1C2229B4
	buffer_load_dword v73, s[20:23], 0 offen lds               // 0000000106A8: E0511000 80050049
	s_add_u32 m0, 0x400, s49                                   // 0000000106B0: 807C31FF 00000400
	v_mfma_f32_16x16x32_fp8_fp8 v[8:11], a[182:183], a[22:23], v[8:11]// 0000000106B8: D3F30008 1C222DB6
	v_fma_f32 v136, v12, v6, v136                              // 0000000106C0: D1CB0088 06220D0C
	v_fma_f32 v137, v13, v6, v137                              // 0000000106C8: D1CB0089 06260D0D
	v_fma_f32 v138, v14, v6, v138                              // 0000000106D0: D1CB008A 062A0D0E
	v_fma_f32 v139, v15, v6, v139                              // 0000000106D8: D1CB008B 062E0D0F
	v_mfma_f32_16x16x32_fp8_fp8 v[12:15], a[184:185], a[16:17], 0// 0000000106E0: D3F3000C 1A0221B8
	buffer_load_dword v74, s[20:23], 0 offen lds               // 0000000106E8: E0511000 8005004A
	s_add_u32 m0, 0x500, s49                                   // 0000000106F0: 807C31FF 00000500
	v_mfma_f32_16x16x32_fp8_fp8 v[12:15], a[186:187], a[18:19], v[12:15]// 0000000106F8: D3F3000C 1C3225BA
	v_mfma_f32_16x16x32_fp8_fp8 v[12:15], a[188:189], a[20:21], v[12:15]// 000000010700: D3F3000C 1C3229BC
	buffer_load_dword v75, s[20:23], 0 offen lds               // 000000010708: E0511000 8005004B
	s_add_u32 m0, 0x600, s49                                   // 000000010710: 807C31FF 00000600
	v_mfma_f32_16x16x32_fp8_fp8 v[12:15], a[190:191], a[22:23], v[12:15]// 000000010718: D3F3000C 1C322DBE
	v_fma_f32 v100, v8, v4, v100                               // 000000010720: D1CB0064 05920908
	v_fma_f32 v101, v9, v4, v101                               // 000000010728: D1CB0065 05960909
	v_fma_f32 v102, v10, v4, v102                              // 000000010730: D1CB0066 059A090A
	v_fma_f32 v103, v11, v4, v103                              // 000000010738: D1CB0067 059E090B
	v_mul_f32_dpp v6, v26, v63 row_newbcast:0 row_mask:0xf bank_mask:0xf// 000000010740: 0A0C7EFA FF01501A
	v_mfma_f32_16x16x32_fp8_fp8 v[8:11], a[176:177], a[24:25], 0// 000000010748: D3F30008 1A0231B0
	buffer_load_dword v76, s[20:23], 0 offen lds               // 000000010750: E0511000 8005004C
	s_add_u32 m0, 0x700, s49                                   // 000000010758: 807C31FF 00000700
	v_mfma_f32_16x16x32_fp8_fp8 v[8:11], a[178:179], a[26:27], v[8:11]// 000000010760: D3F30008 1C2235B2
	v_mfma_f32_16x16x32_fp8_fp8 v[8:11], a[180:181], a[28:29], v[8:11]// 000000010768: D3F30008 1C2239B4
	buffer_load_dword v77, s[20:23], 0 offen lds               // 000000010770: E0511000 8005004D
	s_add_u32 m0, 0x800, s49                                   // 000000010778: 807C31FF 00000800
	v_mfma_f32_16x16x32_fp8_fp8 v[8:11], a[182:183], a[30:31], v[8:11]// 000000010780: D3F30008 1C223DB6
	v_fma_f32 v140, v12, v4, v140                              // 000000010788: D1CB008C 0632090C
	v_fma_f32 v141, v13, v4, v141                              // 000000010790: D1CB008D 0636090D
	v_fma_f32 v142, v14, v4, v142                              // 000000010798: D1CB008E 063A090E
	v_fma_f32 v143, v15, v4, v143                              // 0000000107A0: D1CB008F 063E090F
	v_mfma_f32_16x16x32_fp8_fp8 v[12:15], a[184:185], a[24:25], 0// 0000000107A8: D3F3000C 1A0231B8
	buffer_load_dword v78, s[20:23], 0 offen lds               // 0000000107B0: E0511000 8005004E
	s_add_u32 m0, 0x900, s49                                   // 0000000107B8: 807C31FF 00000900
	v_mfma_f32_16x16x32_fp8_fp8 v[12:15], a[186:187], a[26:27], v[12:15]// 0000000107C0: D3F3000C 1C3235BA
	v_mfma_f32_16x16x32_fp8_fp8 v[12:15], a[188:189], a[28:29], v[12:15]// 0000000107C8: D3F3000C 1C3239BC
	buffer_load_dword v79, s[20:23], 0 offen lds               // 0000000107D0: E0511000 8005004F
	s_add_u32 m0, 0xa00, s49                                   // 0000000107D8: 807C31FF 00000A00
	v_mfma_f32_16x16x32_fp8_fp8 v[12:15], a[190:191], a[30:31], v[12:15]// 0000000107E0: D3F3000C 1C323DBE
	v_fma_f32 v104, v8, v6, v104                               // 0000000107E8: D1CB0068 05A20D08
	v_fma_f32 v105, v9, v6, v105                               // 0000000107F0: D1CB0069 05A60D09
	v_fma_f32 v106, v10, v6, v106                              // 0000000107F8: D1CB006A 05AA0D0A
	v_fma_f32 v107, v11, v6, v107                              // 000000010800: D1CB006B 05AE0D0B
	v_mul_f32_dpp v4, v26, v64 row_newbcast:0 row_mask:0xf bank_mask:0xf// 000000010808: 0A0880FA FF01501A
	v_mfma_f32_16x16x32_fp8_fp8 v[8:11], a[176:177], a[32:33], 0// 000000010810: D3F30008 1A0241B0
	buffer_load_dword v80, s[20:23], 0 offen lds               // 000000010818: E0511000 80050050
	s_add_u32 m0, 0xb00, s49                                   // 000000010820: 807C31FF 00000B00
	v_mfma_f32_16x16x32_fp8_fp8 v[8:11], a[178:179], a[34:35], v[8:11]// 000000010828: D3F30008 1C2245B2
	v_mfma_f32_16x16x32_fp8_fp8 v[8:11], a[180:181], a[36:37], v[8:11]// 000000010830: D3F30008 1C2249B4
	buffer_load_dword v81, s[20:23], 0 offen lds               // 000000010838: E0511000 80050051
	s_add_u32 m0, 0xc00, s49                                   // 000000010840: 807C31FF 00000C00
	v_mfma_f32_16x16x32_fp8_fp8 v[8:11], a[182:183], a[38:39], v[8:11]// 000000010848: D3F30008 1C224DB6
	v_fma_f32 v144, v12, v6, v144                              // 000000010850: D1CB0090 06420D0C
	v_fma_f32 v145, v13, v6, v145                              // 000000010858: D1CB0091 06460D0D
	v_fma_f32 v146, v14, v6, v146                              // 000000010860: D1CB0092 064A0D0E
	v_fma_f32 v147, v15, v6, v147                              // 000000010868: D1CB0093 064E0D0F
	v_mfma_f32_16x16x32_fp8_fp8 v[12:15], a[184:185], a[32:33], 0// 000000010870: D3F3000C 1A0241B8
	buffer_load_dword v82, s[20:23], 0 offen lds               // 000000010878: E0511000 80050052
	s_add_u32 m0, 0xd00, s49                                   // 000000010880: 807C31FF 00000D00
	v_mfma_f32_16x16x32_fp8_fp8 v[12:15], a[186:187], a[34:35], v[12:15]// 000000010888: D3F3000C 1C3245BA
	v_mfma_f32_16x16x32_fp8_fp8 v[12:15], a[188:189], a[36:37], v[12:15]// 000000010890: D3F3000C 1C3249BC
	buffer_load_dword v83, s[20:23], 0 offen lds               // 000000010898: E0511000 80050053
	s_add_u32 m0, 0xe00, s49                                   // 0000000108A0: 807C31FF 00000E00
	v_mfma_f32_16x16x32_fp8_fp8 v[12:15], a[190:191], a[38:39], v[12:15]// 0000000108A8: D3F3000C 1C324DBE
	v_fma_f32 v108, v8, v4, v108                               // 0000000108B0: D1CB006C 05B20908
	v_fma_f32 v109, v9, v4, v109                               // 0000000108B8: D1CB006D 05B60909
	v_fma_f32 v110, v10, v4, v110                              // 0000000108C0: D1CB006E 05BA090A
	v_fma_f32 v111, v11, v4, v111                              // 0000000108C8: D1CB006F 05BE090B
	v_mul_f32_dpp v6, v26, v65 row_newbcast:0 row_mask:0xf bank_mask:0xf// 0000000108D0: 0A0C82FA FF01501A
	v_mfma_f32_16x16x32_fp8_fp8 v[8:11], a[176:177], a[40:41], 0// 0000000108D8: D3F30008 1A0251B0
	buffer_load_dword v84, s[20:23], 0 offen lds               // 0000000108E0: E0511000 80050054
	s_add_u32 m0, 0xf00, s49                                   // 0000000108E8: 807C31FF 00000F00
	v_mfma_f32_16x16x32_fp8_fp8 v[8:11], a[178:179], a[42:43], v[8:11]// 0000000108F0: D3F30008 1C2255B2
	v_mfma_f32_16x16x32_fp8_fp8 v[8:11], a[180:181], a[44:45], v[8:11]// 0000000108F8: D3F30008 1C2259B4
	buffer_load_dword v85, s[20:23], 0 offen lds               // 000000010900: E0511000 80050055
	s_add_u32 m0, 0x1000, s49                                  // 000000010908: 807C31FF 00001000
	v_mfma_f32_16x16x32_fp8_fp8 v[8:11], a[182:183], a[46:47], v[8:11]// 000000010910: D3F30008 1C225DB6
	v_fma_f32 v148, v12, v4, v148                              // 000000010918: D1CB0094 0652090C
	v_fma_f32 v149, v13, v4, v149                              // 000000010920: D1CB0095 0656090D
	v_fma_f32 v150, v14, v4, v150                              // 000000010928: D1CB0096 065A090E
	v_fma_f32 v151, v15, v4, v151                              // 000000010930: D1CB0097 065E090F
	v_mfma_f32_16x16x32_fp8_fp8 v[12:15], a[184:185], a[40:41], 0// 000000010938: D3F3000C 1A0251B8
	buffer_load_dword v86, s[20:23], 0 offen lds               // 000000010940: E0511000 80050056
	s_add_u32 m0, 0x1100, s49                                  // 000000010948: 807C31FF 00001100
	v_mfma_f32_16x16x32_fp8_fp8 v[12:15], a[186:187], a[42:43], v[12:15]// 000000010950: D3F3000C 1C3255BA
	v_mfma_f32_16x16x32_fp8_fp8 v[12:15], a[188:189], a[44:45], v[12:15]// 000000010958: D3F3000C 1C3259BC
	buffer_load_dword v87, s[20:23], 0 offen lds               // 000000010960: E0511000 80050057
	s_add_u32 m0, 0x1200, s49                                  // 000000010968: 807C31FF 00001200
	v_mfma_f32_16x16x32_fp8_fp8 v[12:15], a[190:191], a[46:47], v[12:15]// 000000010970: D3F3000C 1C325DBE
	v_fma_f32 v112, v8, v6, v112                               // 000000010978: D1CB0070 05C20D08
	v_fma_f32 v113, v9, v6, v113                               // 000000010980: D1CB0071 05C60D09
	v_fma_f32 v114, v10, v6, v114                              // 000000010988: D1CB0072 05CA0D0A
	v_fma_f32 v115, v11, v6, v115                              // 000000010990: D1CB0073 05CE0D0B
	v_mul_f32_dpp v4, v26, v66 row_newbcast:0 row_mask:0xf bank_mask:0xf// 000000010998: 0A0884FA FF01501A
	v_mfma_f32_16x16x32_fp8_fp8 v[8:11], a[176:177], a[48:49], 0// 0000000109A0: D3F30008 1A0261B0
	buffer_load_dword v88, s[20:23], 0 offen lds               // 0000000109A8: E0511000 80050058
	s_add_u32 m0, 0x1300, s49                                  // 0000000109B0: 807C31FF 00001300
	v_mfma_f32_16x16x32_fp8_fp8 v[8:11], a[178:179], a[50:51], v[8:11]// 0000000109B8: D3F30008 1C2265B2
	v_mfma_f32_16x16x32_fp8_fp8 v[8:11], a[180:181], a[52:53], v[8:11]// 0000000109C0: D3F30008 1C2269B4
	buffer_load_dword v89, s[20:23], 0 offen lds               // 0000000109C8: E0511000 80050059
	s_add_u32 m0, 0, s50                                       // 0000000109D0: 807C3280
	v_mfma_f32_16x16x32_fp8_fp8 v[8:11], a[182:183], a[54:55], v[8:11]// 0000000109D4: D3F30008 1C226DB6
	v_fma_f32 v152, v12, v6, v152                              // 0000000109DC: D1CB0098 06620D0C
	v_fma_f32 v153, v13, v6, v153                              // 0000000109E4: D1CB0099 06660D0D
	v_fma_f32 v154, v14, v6, v154                              // 0000000109EC: D1CB009A 066A0D0E
	v_fma_f32 v155, v15, v6, v155                              // 0000000109F4: D1CB009B 066E0D0F
	v_mfma_f32_16x16x32_fp8_fp8 v[12:15], a[184:185], a[48:49], 0// 0000000109FC: D3F3000C 1A0261B8
	buffer_load_dword v50, v30, s[28:31], 0 offen              // 000000010A04: E0501000 8007321E
	v_mfma_f32_16x16x32_fp8_fp8 v[12:15], a[186:187], a[50:51], v[12:15]// 000000010A0C: D3F3000C 1C3265BA
	v_mfma_f32_16x16x32_fp8_fp8 v[12:15], a[188:189], a[52:53], v[12:15]// 000000010A14: D3F3000C 1C3269BC
	buffer_load_dword v51, v31, s[28:31], 0 offen              // 000000010A1C: E0501000 8007331F
	v_mfma_f32_16x16x32_fp8_fp8 v[12:15], a[190:191], a[54:55], v[12:15]// 000000010A24: D3F3000C 1C326DBE
	v_fma_f32 v116, v8, v4, v116                               // 000000010A2C: D1CB0074 05D20908
	v_fma_f32 v117, v9, v4, v117                               // 000000010A34: D1CB0075 05D60909
	v_fma_f32 v118, v10, v4, v118                              // 000000010A3C: D1CB0076 05DA090A
	v_fma_f32 v119, v11, v4, v119                              // 000000010A44: D1CB0077 05DE090B
	v_mul_f32_dpp v6, v26, v67 row_newbcast:0 row_mask:0xf bank_mask:0xf// 000000010A4C: 0A0C86FA FF01501A
	v_mfma_f32_16x16x32_fp8_fp8 v[8:11], a[176:177], a[56:57], 0// 000000010A54: D3F30008 1A0271B0
	buffer_load_dword v52, v32, s[28:31], 0 offen              // 000000010A5C: E0501000 80073420
	v_mfma_f32_16x16x32_fp8_fp8 v[8:11], a[178:179], a[58:59], v[8:11]// 000000010A64: D3F30008 1C2275B2
	v_mfma_f32_16x16x32_fp8_fp8 v[8:11], a[180:181], a[60:61], v[8:11]// 000000010A6C: D3F30008 1C2279B4
	buffer_load_dword v53, v33, s[28:31], 0 offen              // 000000010A74: E0501000 80073521
	v_mfma_f32_16x16x32_fp8_fp8 v[8:11], a[182:183], a[62:63], v[8:11]// 000000010A7C: D3F30008 1C227DB6
	v_fma_f32 v156, v12, v4, v156                              // 000000010A84: D1CB009C 0672090C
	v_fma_f32 v157, v13, v4, v157                              // 000000010A8C: D1CB009D 0676090D
	v_fma_f32 v158, v14, v4, v158                              // 000000010A94: D1CB009E 067A090E
	v_fma_f32 v159, v15, v4, v159                              // 000000010A9C: D1CB009F 067E090F
	v_mfma_f32_16x16x32_fp8_fp8 v[12:15], a[184:185], a[56:57], 0// 000000010AA4: D3F3000C 1A0271B8
	buffer_load_dword v54, v34, s[28:31], 0 offen              // 000000010AAC: E0501000 80073622
	v_mfma_f32_16x16x32_fp8_fp8 v[12:15], a[186:187], a[58:59], v[12:15]// 000000010AB4: D3F3000C 1C3275BA
	v_mfma_f32_16x16x32_fp8_fp8 v[12:15], a[188:189], a[60:61], v[12:15]// 000000010ABC: D3F3000C 1C3279BC
	buffer_load_dword v55, v35, s[28:31], 0 offen              // 000000010AC4: E0501000 80073723
	v_mfma_f32_16x16x32_fp8_fp8 v[12:15], a[190:191], a[62:63], v[12:15]// 000000010ACC: D3F3000C 1C327DBE
	v_fma_f32 v120, v8, v6, v120                               // 000000010AD4: D1CB0078 05E20D08
	v_fma_f32 v121, v9, v6, v121                               // 000000010ADC: D1CB0079 05E60D09
	v_fma_f32 v122, v10, v6, v122                              // 000000010AE4: D1CB007A 05EA0D0A
	v_fma_f32 v123, v11, v6, v123                              // 000000010AEC: D1CB007B 05EE0D0B
	v_mul_f32_dpp v4, v26, v68 row_newbcast:0 row_mask:0xf bank_mask:0xf// 000000010AF4: 0A0888FA FF01501A
	v_mfma_f32_16x16x32_fp8_fp8 v[8:11], a[176:177], a[64:65], 0// 000000010AFC: D3F30008 1A0281B0
	buffer_load_dword v56, v36, s[28:31], 0 offen              // 000000010B04: E0501000 80073824
	v_mfma_f32_16x16x32_fp8_fp8 v[8:11], a[178:179], a[66:67], v[8:11]// 000000010B0C: D3F30008 1C2285B2
	v_mfma_f32_16x16x32_fp8_fp8 v[8:11], a[180:181], a[68:69], v[8:11]// 000000010B14: D3F30008 1C2289B4
	buffer_load_dword v57, v37, s[28:31], 0 offen              // 000000010B1C: E0501000 80073925
	v_mfma_f32_16x16x32_fp8_fp8 v[8:11], a[182:183], a[70:71], v[8:11]// 000000010B24: D3F30008 1C228DB6
	v_fma_f32 v160, v12, v6, v160                              // 000000010B2C: D1CB00A0 06820D0C
	v_fma_f32 v161, v13, v6, v161                              // 000000010B34: D1CB00A1 06860D0D
	v_fma_f32 v162, v14, v6, v162                              // 000000010B3C: D1CB00A2 068A0D0E
	v_fma_f32 v163, v15, v6, v163                              // 000000010B44: D1CB00A3 068E0D0F
	v_mfma_f32_16x16x32_fp8_fp8 v[12:15], a[184:185], a[64:65], 0// 000000010B4C: D3F3000C 1A0281B8
	buffer_load_dword v58, v38, s[28:31], 0 offen              // 000000010B54: E0501000 80073A26
	v_mfma_f32_16x16x32_fp8_fp8 v[12:15], a[186:187], a[66:67], v[12:15]// 000000010B5C: D3F3000C 1C3285BA
	v_mfma_f32_16x16x32_fp8_fp8 v[12:15], a[188:189], a[68:69], v[12:15]// 000000010B64: D3F3000C 1C3289BC
	buffer_load_dword v59, v39, s[28:31], 0 offen              // 000000010B6C: E0501000 80073B27
	v_mfma_f32_16x16x32_fp8_fp8 v[12:15], a[190:191], a[70:71], v[12:15]// 000000010B74: D3F3000C 1C328DBE
	v_fma_f32 v124, v8, v4, v124                               // 000000010B7C: D1CB007C 05F20908
	v_fma_f32 v125, v9, v4, v125                               // 000000010B84: D1CB007D 05F60909
	v_fma_f32 v126, v10, v4, v126                              // 000000010B8C: D1CB007E 05FA090A
	v_fma_f32 v127, v11, v4, v127                              // 000000010B94: D1CB007F 05FE090B
	v_mul_f32_dpp v6, v26, v69 row_newbcast:0 row_mask:0xf bank_mask:0xf// 000000010B9C: 0A0C8AFA FF01501A
	v_mfma_f32_16x16x32_fp8_fp8 v[8:11], a[176:177], a[72:73], 0// 000000010BA4: D3F30008 1A0291B0
	v_mfma_f32_16x16x32_fp8_fp8 v[8:11], a[178:179], a[74:75], v[8:11]// 000000010BAC: D3F30008 1C2295B2
	v_mfma_f32_16x16x32_fp8_fp8 v[8:11], a[180:181], a[76:77], v[8:11]// 000000010BB4: D3F30008 1C2299B4
	v_mfma_f32_16x16x32_fp8_fp8 v[8:11], a[182:183], a[78:79], v[8:11]// 000000010BBC: D3F30008 1C229DB6
	v_fma_f32 v164, v12, v4, v164                              // 000000010BC4: D1CB00A4 0692090C
	v_fma_f32 v165, v13, v4, v165                              // 000000010BCC: D1CB00A5 0696090D
	v_fma_f32 v166, v14, v4, v166                              // 000000010BD4: D1CB00A6 069A090E
	v_fma_f32 v167, v15, v4, v167                              // 000000010BDC: D1CB00A7 069E090F
	v_mfma_f32_16x16x32_fp8_fp8 v[12:15], a[184:185], a[72:73], 0// 000000010BE4: D3F3000C 1A0291B8
	v_mfma_f32_16x16x32_fp8_fp8 v[12:15], a[186:187], a[74:75], v[12:15]// 000000010BEC: D3F3000C 1C3295BA
	v_mfma_f32_16x16x32_fp8_fp8 v[12:15], a[188:189], a[76:77], v[12:15]// 000000010BF4: D3F3000C 1C3299BC
	v_mfma_f32_16x16x32_fp8_fp8 v[12:15], a[190:191], a[78:79], v[12:15]// 000000010BFC: D3F3000C 1C329DBE
	v_fma_f32 v128, v8, v6, v128                               // 000000010C04: D1CB0080 06020D08
	v_fma_f32 v129, v9, v6, v129                               // 000000010C0C: D1CB0081 06060D09
	v_fma_f32 v130, v10, v6, v130                              // 000000010C14: D1CB0082 060A0D0A
	v_fma_f32 v131, v11, v6, v131                              // 000000010C1C: D1CB0083 060E0D0B
	v_fma_f32 v168, v12, v6, v168                              // 000000010C24: D1CB00A8 06A20D0C
	v_fma_f32 v169, v13, v6, v169                              // 000000010C2C: D1CB00A9 06A60D0D
	v_fma_f32 v170, v14, v6, v170                              // 000000010C34: D1CB00AA 06AA0D0E
	v_fma_f32 v171, v15, v6, v171                              // 000000010C3C: D1CB00AB 06AE0D0F
	s_waitcnt vmcnt(35)                                        // 000000010C44: BF8C8F73
	s_barrier                                                  // 000000010C48: BF8A0000
	v_mul_f32_dpp v4, v29, v60 row_newbcast:0 row_mask:0xf bank_mask:0xf// 000000010C4C: 0A0878FA FF01501D
	v_mfma_f32_16x16x32_fp8_fp8 v[8:11], a[192:193], a[0:1], 0 // 000000010C54: D3F30008 1A0201C0
	buffer_load_dword v27, v23, s[32:35], 0 offen              // 000000010C5C: E0501000 80081B17
	buffer_load_dwordx4 a[176:179], v90, s[84:87], 0 offen     // 000000010C64: E05C1000 8095B05A
	v_mfma_f32_16x16x32_fp8_fp8 v[8:11], a[194:195], a[2:3], v[8:11]// 000000010C6C: D3F30008 1C2205C2
	v_mfma_f32_16x16x32_fp8_fp8 v[8:11], a[196:197], a[4:5], v[8:11]// 000000010C74: D3F30008 1C2209C4
	ds_read_b128 a[80:83], v2                                  // 000000010C7C: DBFE0000 50000002
	ds_read_b128 a[84:87], v2 offset:64                        // 000000010C84: DBFE0040 54000002
	v_mfma_f32_16x16x32_fp8_fp8 v[8:11], a[198:199], a[6:7], v[8:11]// 000000010C8C: D3F30008 1C220DC6
	v_mfma_f32_16x16x32_fp8_fp8 v[12:15], a[200:201], a[0:1], 0// 000000010C94: D3F3000C 1A0201C8
	buffer_load_dwordx4 a[180:183], v90, s[84:87], 0 offen offset:1024// 000000010C9C: E05C1400 8095B45A
	v_mfma_f32_16x16x32_fp8_fp8 v[12:15], a[202:203], a[2:3], v[12:15]// 000000010CA4: D3F3000C 1C3205CA
	v_mfma_f32_16x16x32_fp8_fp8 v[12:15], a[204:205], a[4:5], v[12:15]// 000000010CAC: D3F3000C 1C3209CC
	ds_read_b128 a[88:91], v2 offset:512                       // 000000010CB4: DBFE0200 58000002
	ds_read_b128 a[92:95], v2 offset:576                       // 000000010CBC: DBFE0240 5C000002
	v_mfma_f32_16x16x32_fp8_fp8 v[12:15], a[206:207], a[6:7], v[12:15]// 000000010CC4: D3F3000C 1C320DCE
	v_fma_f32 v172, v8, v4, v172                               // 000000010CCC: D1CB00AC 06B20908
	v_fma_f32 v173, v9, v4, v173                               // 000000010CD4: D1CB00AD 06B60909
	v_fma_f32 v174, v10, v4, v174                              // 000000010CDC: D1CB00AE 06BA090A
	v_fma_f32 v175, v11, v4, v175                              // 000000010CE4: D1CB00AF 06BE090B
	v_mul_f32_dpp v6, v29, v61 row_newbcast:0 row_mask:0xf bank_mask:0xf// 000000010CEC: 0A0C7AFA FF01501D
	v_mfma_f32_16x16x32_fp8_fp8 v[8:11], a[192:193], a[8:9], 0 // 000000010CF4: D3F30008 1A0211C0
	buffer_load_dwordx4 a[184:187], v91, s[84:87], 0 offen     // 000000010CFC: E05C1000 8095B85B
	v_mfma_f32_16x16x32_fp8_fp8 v[8:11], a[194:195], a[10:11], v[8:11]// 000000010D04: D3F30008 1C2215C2
	v_mfma_f32_16x16x32_fp8_fp8 v[8:11], a[196:197], a[12:13], v[8:11]// 000000010D0C: D3F30008 1C2219C4
	ds_read_b128 a[96:99], v2 offset:1024                      // 000000010D14: DBFE0400 60000002
	ds_read_b128 a[100:103], v2 offset:1088                    // 000000010D1C: DBFE0440 64000002
	v_mfma_f32_16x16x32_fp8_fp8 v[8:11], a[198:199], a[14:15], v[8:11]// 000000010D24: D3F30008 1C221DC6
	v_fma_f32 v212, v12, v4, v212                              // 000000010D2C: D1CB00D4 0752090C
	v_fma_f32 v213, v13, v4, v213                              // 000000010D34: D1CB00D5 0756090D
	v_fma_f32 v214, v14, v4, v214                              // 000000010D3C: D1CB00D6 075A090E
	v_fma_f32 v215, v15, v4, v215                              // 000000010D44: D1CB00D7 075E090F
	v_mfma_f32_16x16x32_fp8_fp8 v[12:15], a[200:201], a[8:9], 0// 000000010D4C: D3F3000C 1A0211C8
	buffer_load_dwordx4 a[188:191], v91, s[84:87], 0 offen offset:1024// 000000010D54: E05C1400 8095BC5B
	v_mfma_f32_16x16x32_fp8_fp8 v[12:15], a[202:203], a[10:11], v[12:15]// 000000010D5C: D3F3000C 1C3215CA
	v_mfma_f32_16x16x32_fp8_fp8 v[12:15], a[204:205], a[12:13], v[12:15]// 000000010D64: D3F3000C 1C3219CC
	ds_read_b128 a[104:107], v2 offset:1536                    // 000000010D6C: DBFE0600 68000002
	ds_read_b128 a[108:111], v2 offset:1600                    // 000000010D74: DBFE0640 6C000002
	v_mfma_f32_16x16x32_fp8_fp8 v[12:15], a[206:207], a[14:15], v[12:15]// 000000010D7C: D3F3000C 1C321DCE
	v_fma_f32 v176, v8, v6, v176                               // 000000010D84: D1CB00B0 06C20D08
	v_fma_f32 v177, v9, v6, v177                               // 000000010D8C: D1CB00B1 06C60D09
	v_fma_f32 v178, v10, v6, v178                              // 000000010D94: D1CB00B2 06CA0D0A
	v_fma_f32 v179, v11, v6, v179                              // 000000010D9C: D1CB00B3 06CE0D0B
	v_mul_f32_dpp v4, v29, v62 row_newbcast:0 row_mask:0xf bank_mask:0xf// 000000010DA4: 0A087CFA FF01501D
	v_mfma_f32_16x16x32_fp8_fp8 v[8:11], a[192:193], a[16:17], 0// 000000010DAC: D3F30008 1A0221C0
	v_mfma_f32_16x16x32_fp8_fp8 v[8:11], a[194:195], a[18:19], v[8:11]// 000000010DB4: D3F30008 1C2225C2
	v_mfma_f32_16x16x32_fp8_fp8 v[8:11], a[196:197], a[20:21], v[8:11]// 000000010DBC: D3F30008 1C2229C4
	ds_read_b128 a[112:115], v2 offset:2048                    // 000000010DC4: DBFE0800 70000002
	ds_read_b128 a[116:119], v2 offset:2112                    // 000000010DCC: DBFE0840 74000002
	v_mfma_f32_16x16x32_fp8_fp8 v[8:11], a[198:199], a[22:23], v[8:11]// 000000010DD4: D3F30008 1C222DC6
	v_fma_f32 v216, v12, v6, v216                              // 000000010DDC: D1CB00D8 07620D0C
	v_fma_f32 v217, v13, v6, v217                              // 000000010DE4: D1CB00D9 07660D0D
	v_fma_f32 v218, v14, v6, v218                              // 000000010DEC: D1CB00DA 076A0D0E
	v_fma_f32 v219, v15, v6, v219                              // 000000010DF4: D1CB00DB 076E0D0F
	v_mfma_f32_16x16x32_fp8_fp8 v[12:15], a[200:201], a[16:17], 0// 000000010DFC: D3F3000C 1A0221C8
	v_mfma_f32_16x16x32_fp8_fp8 v[12:15], a[202:203], a[18:19], v[12:15]// 000000010E04: D3F3000C 1C3225CA
	v_mfma_f32_16x16x32_fp8_fp8 v[12:15], a[204:205], a[20:21], v[12:15]// 000000010E0C: D3F3000C 1C3229CC
	ds_read_b128 a[120:123], v2 offset:2560                    // 000000010E14: DBFE0A00 78000002
	ds_read_b128 a[124:127], v2 offset:2624                    // 000000010E1C: DBFE0A40 7C000002
	v_mfma_f32_16x16x32_fp8_fp8 v[12:15], a[206:207], a[22:23], v[12:15]// 000000010E24: D3F3000C 1C322DCE
	v_fma_f32 v180, v8, v4, v180                               // 000000010E2C: D1CB00B4 06D20908
	v_fma_f32 v181, v9, v4, v181                               // 000000010E34: D1CB00B5 06D60909
	v_fma_f32 v182, v10, v4, v182                              // 000000010E3C: D1CB00B6 06DA090A
	v_fma_f32 v183, v11, v4, v183                              // 000000010E44: D1CB00B7 06DE090B
	v_mul_f32_dpp v6, v29, v63 row_newbcast:0 row_mask:0xf bank_mask:0xf// 000000010E4C: 0A0C7EFA FF01501D
	v_mfma_f32_16x16x32_fp8_fp8 v[8:11], a[192:193], a[24:25], 0// 000000010E54: D3F30008 1A0231C0
	v_mfma_f32_16x16x32_fp8_fp8 v[8:11], a[194:195], a[26:27], v[8:11]// 000000010E5C: D3F30008 1C2235C2
	v_mfma_f32_16x16x32_fp8_fp8 v[8:11], a[196:197], a[28:29], v[8:11]// 000000010E64: D3F30008 1C2239C4
	ds_read_b128 a[128:131], v2 offset:3072                    // 000000010E6C: DBFE0C00 80000002
	ds_read_b128 a[132:135], v2 offset:3136                    // 000000010E74: DBFE0C40 84000002
	v_mfma_f32_16x16x32_fp8_fp8 v[8:11], a[198:199], a[30:31], v[8:11]// 000000010E7C: D3F30008 1C223DC6
	v_fma_f32 v220, v12, v4, v220                              // 000000010E84: D1CB00DC 0772090C
	v_fma_f32 v221, v13, v4, v221                              // 000000010E8C: D1CB00DD 0776090D
	v_fma_f32 v222, v14, v4, v222                              // 000000010E94: D1CB00DE 077A090E
	v_fma_f32 v223, v15, v4, v223                              // 000000010E9C: D1CB00DF 077E090F
	v_mfma_f32_16x16x32_fp8_fp8 v[12:15], a[200:201], a[24:25], 0// 000000010EA4: D3F3000C 1A0231C8
	v_mfma_f32_16x16x32_fp8_fp8 v[12:15], a[202:203], a[26:27], v[12:15]// 000000010EAC: D3F3000C 1C3235CA
	v_mfma_f32_16x16x32_fp8_fp8 v[12:15], a[204:205], a[28:29], v[12:15]// 000000010EB4: D3F3000C 1C3239CC
	ds_read_b128 a[136:139], v2 offset:3584                    // 000000010EBC: DBFE0E00 88000002
	ds_read_b128 a[140:143], v2 offset:3648                    // 000000010EC4: DBFE0E40 8C000002
	v_mfma_f32_16x16x32_fp8_fp8 v[12:15], a[206:207], a[30:31], v[12:15]// 000000010ECC: D3F3000C 1C323DCE
	v_fma_f32 v184, v8, v6, v184                               // 000000010ED4: D1CB00B8 06E20D08
	v_fma_f32 v185, v9, v6, v185                               // 000000010EDC: D1CB00B9 06E60D09
	v_fma_f32 v186, v10, v6, v186                              // 000000010EE4: D1CB00BA 06EA0D0A
	v_fma_f32 v187, v11, v6, v187                              // 000000010EEC: D1CB00BB 06EE0D0B
	v_mul_f32_dpp v4, v29, v64 row_newbcast:0 row_mask:0xf bank_mask:0xf// 000000010EF4: 0A0880FA FF01501D
	v_mfma_f32_16x16x32_fp8_fp8 v[8:11], a[192:193], a[32:33], 0// 000000010EFC: D3F30008 1A0241C0
	v_mfma_f32_16x16x32_fp8_fp8 v[8:11], a[194:195], a[34:35], v[8:11]// 000000010F04: D3F30008 1C2245C2
	v_mfma_f32_16x16x32_fp8_fp8 v[8:11], a[196:197], a[36:37], v[8:11]// 000000010F0C: D3F30008 1C2249C4
	ds_read_b128 a[144:147], v2 offset:4096                    // 000000010F14: DBFE1000 90000002
	ds_read_b128 a[148:151], v2 offset:4160                    // 000000010F1C: DBFE1040 94000002
	v_mfma_f32_16x16x32_fp8_fp8 v[8:11], a[198:199], a[38:39], v[8:11]// 000000010F24: D3F30008 1C224DC6
	v_fma_f32 v224, v12, v6, v224                              // 000000010F2C: D1CB00E0 07820D0C
	v_fma_f32 v225, v13, v6, v225                              // 000000010F34: D1CB00E1 07860D0D
	v_fma_f32 v226, v14, v6, v226                              // 000000010F3C: D1CB00E2 078A0D0E
	v_fma_f32 v227, v15, v6, v227                              // 000000010F44: D1CB00E3 078E0D0F
	v_mfma_f32_16x16x32_fp8_fp8 v[12:15], a[200:201], a[32:33], 0// 000000010F4C: D3F3000C 1A0241C8
	v_mfma_f32_16x16x32_fp8_fp8 v[12:15], a[202:203], a[34:35], v[12:15]// 000000010F54: D3F3000C 1C3245CA
	v_mfma_f32_16x16x32_fp8_fp8 v[12:15], a[204:205], a[36:37], v[12:15]// 000000010F5C: D3F3000C 1C3249CC
	ds_read_b128 a[152:155], v2 offset:4608                    // 000000010F64: DBFE1200 98000002
	ds_read_b128 a[156:159], v2 offset:4672                    // 000000010F6C: DBFE1240 9C000002
	v_mfma_f32_16x16x32_fp8_fp8 v[12:15], a[206:207], a[38:39], v[12:15]// 000000010F74: D3F3000C 1C324DCE
	v_fma_f32 v188, v8, v4, v188                               // 000000010F7C: D1CB00BC 06F20908
	v_fma_f32 v189, v9, v4, v189                               // 000000010F84: D1CB00BD 06F60909
	v_fma_f32 v190, v10, v4, v190                              // 000000010F8C: D1CB00BE 06FA090A
	v_fma_f32 v191, v11, v4, v191                              // 000000010F94: D1CB00BF 06FE090B
	v_mul_f32_dpp v6, v29, v65 row_newbcast:0 row_mask:0xf bank_mask:0xf// 000000010F9C: 0A0C82FA FF01501D
	v_mfma_f32_16x16x32_fp8_fp8 v[8:11], a[192:193], a[40:41], 0// 000000010FA4: D3F30008 1A0251C0
	v_mfma_f32_16x16x32_fp8_fp8 v[8:11], a[194:195], a[42:43], v[8:11]// 000000010FAC: D3F30008 1C2255C2
	v_mfma_f32_16x16x32_fp8_fp8 v[8:11], a[196:197], a[44:45], v[8:11]// 000000010FB4: D3F30008 1C2259C4
	v_mfma_f32_16x16x32_fp8_fp8 v[8:11], a[198:199], a[46:47], v[8:11]// 000000010FBC: D3F30008 1C225DC6
	v_fma_f32 v228, v12, v4, v228                              // 000000010FC4: D1CB00E4 0792090C
	v_fma_f32 v229, v13, v4, v229                              // 000000010FCC: D1CB00E5 0796090D
	v_fma_f32 v230, v14, v4, v230                              // 000000010FD4: D1CB00E6 079A090E
	v_fma_f32 v231, v15, v4, v231                              // 000000010FDC: D1CB00E7 079E090F
	v_mfma_f32_16x16x32_fp8_fp8 v[12:15], a[200:201], a[40:41], 0// 000000010FE4: D3F3000C 1A0251C8
	v_mfma_f32_16x16x32_fp8_fp8 v[12:15], a[202:203], a[42:43], v[12:15]// 000000010FEC: D3F3000C 1C3255CA
	v_mfma_f32_16x16x32_fp8_fp8 v[12:15], a[204:205], a[44:45], v[12:15]// 000000010FF4: D3F3000C 1C3259CC
	v_mfma_f32_16x16x32_fp8_fp8 v[12:15], a[206:207], a[46:47], v[12:15]// 000000010FFC: D3F3000C 1C325DCE
	v_fma_f32 v192, v8, v6, v192                               // 000000011004: D1CB00C0 07020D08
	v_fma_f32 v193, v9, v6, v193                               // 00000001100C: D1CB00C1 07060D09
	v_fma_f32 v194, v10, v6, v194                              // 000000011014: D1CB00C2 070A0D0A
	v_fma_f32 v195, v11, v6, v195                              // 00000001101C: D1CB00C3 070E0D0B
	v_mul_f32_dpp v4, v29, v66 row_newbcast:0 row_mask:0xf bank_mask:0xf// 000000011024: 0A0884FA FF01501D
	v_mfma_f32_16x16x32_fp8_fp8 v[8:11], a[192:193], a[48:49], 0// 00000001102C: D3F30008 1A0261C0
	v_mfma_f32_16x16x32_fp8_fp8 v[8:11], a[194:195], a[50:51], v[8:11]// 000000011034: D3F30008 1C2265C2
	v_mfma_f32_16x16x32_fp8_fp8 v[8:11], a[196:197], a[52:53], v[8:11]// 00000001103C: D3F30008 1C2269C4
	v_mfma_f32_16x16x32_fp8_fp8 v[8:11], a[198:199], a[54:55], v[8:11]// 000000011044: D3F30008 1C226DC6
	v_fma_f32 v232, v12, v6, v232                              // 00000001104C: D1CB00E8 07A20D0C
	v_fma_f32 v233, v13, v6, v233                              // 000000011054: D1CB00E9 07A60D0D
	v_fma_f32 v234, v14, v6, v234                              // 00000001105C: D1CB00EA 07AA0D0E
	v_fma_f32 v235, v15, v6, v235                              // 000000011064: D1CB00EB 07AE0D0F
	v_mfma_f32_16x16x32_fp8_fp8 v[12:15], a[200:201], a[48:49], 0// 00000001106C: D3F3000C 1A0261C8
	v_mfma_f32_16x16x32_fp8_fp8 v[12:15], a[202:203], a[50:51], v[12:15]// 000000011074: D3F3000C 1C3265CA
	v_mfma_f32_16x16x32_fp8_fp8 v[12:15], a[204:205], a[52:53], v[12:15]// 00000001107C: D3F3000C 1C3269CC
	v_mfma_f32_16x16x32_fp8_fp8 v[12:15], a[206:207], a[54:55], v[12:15]// 000000011084: D3F3000C 1C326DCE
	v_fma_f32 v196, v8, v4, v196                               // 00000001108C: D1CB00C4 07120908
	v_fma_f32 v197, v9, v4, v197                               // 000000011094: D1CB00C5 07160909
	v_fma_f32 v198, v10, v4, v198                              // 00000001109C: D1CB00C6 071A090A
	v_fma_f32 v199, v11, v4, v199                              // 0000000110A4: D1CB00C7 071E090B
	v_mul_f32_dpp v6, v29, v67 row_newbcast:0 row_mask:0xf bank_mask:0xf// 0000000110AC: 0A0C86FA FF01501D
	v_mfma_f32_16x16x32_fp8_fp8 v[8:11], a[192:193], a[56:57], 0// 0000000110B4: D3F30008 1A0271C0
	v_mfma_f32_16x16x32_fp8_fp8 v[8:11], a[194:195], a[58:59], v[8:11]// 0000000110BC: D3F30008 1C2275C2
	v_mfma_f32_16x16x32_fp8_fp8 v[8:11], a[196:197], a[60:61], v[8:11]// 0000000110C4: D3F30008 1C2279C4
	v_mfma_f32_16x16x32_fp8_fp8 v[8:11], a[198:199], a[62:63], v[8:11]// 0000000110CC: D3F30008 1C227DC6
	v_fma_f32 v236, v12, v4, v236                              // 0000000110D4: D1CB00EC 07B2090C
	v_fma_f32 v237, v13, v4, v237                              // 0000000110DC: D1CB00ED 07B6090D
	v_fma_f32 v238, v14, v4, v238                              // 0000000110E4: D1CB00EE 07BA090E
	v_fma_f32 v239, v15, v4, v239                              // 0000000110EC: D1CB00EF 07BE090F
	v_mfma_f32_16x16x32_fp8_fp8 v[12:15], a[200:201], a[56:57], 0// 0000000110F4: D3F3000C 1A0271C8
	v_mfma_f32_16x16x32_fp8_fp8 v[12:15], a[202:203], a[58:59], v[12:15]// 0000000110FC: D3F3000C 1C3275CA
	v_mfma_f32_16x16x32_fp8_fp8 v[12:15], a[204:205], a[60:61], v[12:15]// 000000011104: D3F3000C 1C3279CC
	v_mfma_f32_16x16x32_fp8_fp8 v[12:15], a[206:207], a[62:63], v[12:15]// 00000001110C: D3F3000C 1C327DCE
	v_fma_f32 v200, v8, v6, v200                               // 000000011114: D1CB00C8 07220D08
	v_fma_f32 v201, v9, v6, v201                               // 00000001111C: D1CB00C9 07260D09
	v_fma_f32 v202, v10, v6, v202                              // 000000011124: D1CB00CA 072A0D0A
	v_fma_f32 v203, v11, v6, v203                              // 00000001112C: D1CB00CB 072E0D0B
	v_mul_f32_dpp v4, v29, v68 row_newbcast:0 row_mask:0xf bank_mask:0xf// 000000011134: 0A0888FA FF01501D
	v_mfma_f32_16x16x32_fp8_fp8 v[8:11], a[192:193], a[64:65], 0// 00000001113C: D3F30008 1A0281C0
	v_mfma_f32_16x16x32_fp8_fp8 v[8:11], a[194:195], a[66:67], v[8:11]// 000000011144: D3F30008 1C2285C2
	v_mfma_f32_16x16x32_fp8_fp8 v[8:11], a[196:197], a[68:69], v[8:11]// 00000001114C: D3F30008 1C2289C4
	v_mfma_f32_16x16x32_fp8_fp8 v[8:11], a[198:199], a[70:71], v[8:11]// 000000011154: D3F30008 1C228DC6
	v_fma_f32 v240, v12, v6, v240                              // 00000001115C: D1CB00F0 07C20D0C
	v_fma_f32 v241, v13, v6, v241                              // 000000011164: D1CB00F1 07C60D0D
	v_fma_f32 v242, v14, v6, v242                              // 00000001116C: D1CB00F2 07CA0D0E
	v_fma_f32 v243, v15, v6, v243                              // 000000011174: D1CB00F3 07CE0D0F
	v_mfma_f32_16x16x32_fp8_fp8 v[12:15], a[200:201], a[64:65], 0// 00000001117C: D3F3000C 1A0281C8
	v_mfma_f32_16x16x32_fp8_fp8 v[12:15], a[202:203], a[66:67], v[12:15]// 000000011184: D3F3000C 1C3285CA
	v_mfma_f32_16x16x32_fp8_fp8 v[12:15], a[204:205], a[68:69], v[12:15]// 00000001118C: D3F3000C 1C3289CC
	v_mfma_f32_16x16x32_fp8_fp8 v[12:15], a[206:207], a[70:71], v[12:15]// 000000011194: D3F3000C 1C328DCE
	v_fma_f32 v204, v8, v4, v204                               // 00000001119C: D1CB00CC 07320908
	v_fma_f32 v205, v9, v4, v205                               // 0000000111A4: D1CB00CD 07360909
	v_fma_f32 v206, v10, v4, v206                              // 0000000111AC: D1CB00CE 073A090A
	v_fma_f32 v207, v11, v4, v207                              // 0000000111B4: D1CB00CF 073E090B
	v_mul_f32_dpp v6, v29, v69 row_newbcast:0 row_mask:0xf bank_mask:0xf// 0000000111BC: 0A0C8AFA FF01501D
	v_mfma_f32_16x16x32_fp8_fp8 v[8:11], a[192:193], a[72:73], 0// 0000000111C4: D3F30008 1A0291C0
	s_add_u32 s60, 0x180, s80                                  // 0000000111CC: 803C50FF 00000180
	s_cmp_lt_u32 s60, s81                                      // 0000000111D4: BF0A513C
	s_cselect_b32 s57, s57, 0                                  // 0000000111D8: 85398039
	s_cselect_b32 s3, s3, 0                                    // 0000000111DC: 85038003
	v_mfma_f32_16x16x32_fp8_fp8 v[8:11], a[194:195], a[74:75], v[8:11]// 0000000111E0: D3F30008 1C2295C2
	s_add_u32 s60, 0x100, s80                                  // 0000000111E8: 803C50FF 00000100
	s_cmp_lt_u32 s60, s81                                      // 0000000111F0: BF0A513C
	s_cselect_b32 s58, s58, 0                                  // 0000000111F4: 853A803A
	v_mfma_f32_16x16x32_fp8_fp8 v[8:11], a[196:197], a[76:77], v[8:11]// 0000000111F8: D3F30008 1C2299C4
	s_add_u32 s60, 0x100, s80                                  // 000000011200: 803C50FF 00000100
	s_cmp_lt_u32 s60, s81                                      // 000000011208: BF0A513C
	s_cselect_b32 s83, s83, 0                                  // 00000001120C: 85538053
	s_cselect_b32 s4, s4, 0                                    // 000000011210: 85048004
	v_mfma_f32_16x16x32_fp8_fp8 v[8:11], a[198:199], a[78:79], v[8:11]// 000000011214: D3F30008 1C229DC6
	s_add_u32 s24, s58, s24                                    // 00000001121C: 8018183A
	s_addc_u32 s25, 0, s25                                     // 000000011220: 82191980
	v_fma_f32 v244, v12, v4, v244                              // 000000011224: D1CB00F4 07D2090C
	v_fma_f32 v245, v13, v4, v245                              // 00000001122C: D1CB00F5 07D6090D
	v_fma_f32 v246, v14, v4, v246                              // 000000011234: D1CB00F6 07DA090E
	v_fma_f32 v247, v15, v4, v247                              // 00000001123C: D1CB00F7 07DE090F
	v_mfma_f32_16x16x32_fp8_fp8 v[12:15], a[200:201], a[72:73], 0// 000000011244: D3F3000C 1A0291C8
	s_add_u32 s20, s57, s20                                    // 00000001124C: 80141439
	s_addc_u32 s21, 0, s21                                     // 000000011250: 82151580
	s_add_u32 s28, s3, s28                                     // 000000011254: 801C1C03
	s_addc_u32 s29, 0, s29                                     // 000000011258: 821D1D80
	v_mfma_f32_16x16x32_fp8_fp8 v[12:15], a[202:203], a[74:75], v[12:15]// 00000001125C: D3F3000C 1C3295CA
	s_add_u32 s84, s83, s84                                    // 000000011264: 80545453
	s_addc_u32 s85, 0, s85                                     // 000000011268: 82555580
	v_mfma_f32_16x16x32_fp8_fp8 v[12:15], a[204:205], a[76:77], v[12:15]// 00000001126C: D3F3000C 1C3299CC
	s_add_u32 s32, s4, s32                                     // 000000011274: 80202004
	s_addc_u32 s33, 0, s33                                     // 000000011278: 82212180
	v_mfma_f32_16x16x32_fp8_fp8 v[12:15], a[206:207], a[78:79], v[12:15]// 00000001127C: D3F3000C 1C329DCE
	v_fma_f32 v208, v8, v6, v208                               // 000000011284: D1CB00D0 07420D08
	v_fma_f32 v209, v9, v6, v209                               // 00000001128C: D1CB00D1 07460D09
	v_fma_f32 v210, v10, v6, v210                              // 000000011294: D1CB00D2 074A0D0A
	v_fma_f32 v211, v11, v6, v211                              // 00000001129C: D1CB00D3 074E0D0B
	v_fma_f32 v248, v12, v6, v248                              // 0000000112A4: D1CB00F8 07E20D0C
	v_fma_f32 v249, v13, v6, v249                              // 0000000112AC: D1CB00F9 07E60D0D
	v_fma_f32 v250, v14, v6, v250                              // 0000000112B4: D1CB00FA 07EA0D0E
	v_fma_f32 v251, v15, v6, v251                              // 0000000112BC: D1CB00FB 07EE0D0F
	s_addk_i32 s80, 0x80                                       // 0000000112C4: B7500080
	s_cmp_lt_i32 s80, s81                                      // 0000000112C8: BF045150
	s_cbranch_scc0 label_4467                                  // 0000000112CC: BF840A30
	s_waitcnt vmcnt(35) lgkmcnt(0)                             // 0000000112D0: BF8C8073
	v_mul_f32_dpp v4, v24, v40 row_newbcast:0 row_mask:0xf bank_mask:0xf// 0000000112D4: 0A0850FA FF015018
	v_mfma_f32_16x16x32_fp8_fp8 v[8:11], a[160:161], a[80:81], 0// 0000000112DC: D3F30008 1A02A1A0
	buffer_load_dword v25, v22, s[32:35], 0 offen              // 0000000112E4: E0501000 80081916
	buffer_load_dwordx4 a[192:195], v90, s[24:27], 0 offen     // 0000000112EC: E05C1000 8086C05A
	v_mfma_f32_16x16x32_fp8_fp8 v[8:11], a[162:163], a[82:83], v[8:11]// 0000000112F4: D3F30008 1C22A5A2
	v_mfma_f32_16x16x32_fp8_fp8 v[8:11], a[164:165], a[84:85], v[8:11]// 0000000112FC: D3F30008 1C22A9A4
	v_mfma_f32_16x16x32_fp8_fp8 v[8:11], a[166:167], a[86:87], v[8:11]// 000000011304: D3F30008 1C22ADA6
	v_mfma_f32_16x16x32_fp8_fp8 v[12:15], a[168:169], a[80:81], 0// 00000001130C: D3F3000C 1A02A1A8
	buffer_load_dwordx4 a[196:199], v90, s[24:27], 0 offen offset:1024// 000000011314: E05C1400 8086C45A
	v_mfma_f32_16x16x32_fp8_fp8 v[12:15], a[170:171], a[82:83], v[12:15]// 00000001131C: D3F3000C 1C32A5AA
	v_mfma_f32_16x16x32_fp8_fp8 v[12:15], a[172:173], a[84:85], v[12:15]// 000000011324: D3F3000C 1C32A9AC
	v_mfma_f32_16x16x32_fp8_fp8 v[12:15], a[174:175], a[86:87], v[12:15]// 00000001132C: D3F3000C 1C32ADAE
	v_fma_f32 v92, v8, v4, v92                                 // 000000011334: D1CB005C 05720908
	v_fma_f32 v93, v9, v4, v93                                 // 00000001133C: D1CB005D 05760909
	v_fma_f32 v94, v10, v4, v94                                // 000000011344: D1CB005E 057A090A
	v_fma_f32 v95, v11, v4, v95                                // 00000001134C: D1CB005F 057E090B
	v_mul_f32_dpp v6, v24, v41 row_newbcast:0 row_mask:0xf bank_mask:0xf// 000000011354: 0A0C52FA FF015018
	v_mfma_f32_16x16x32_fp8_fp8 v[8:11], a[160:161], a[88:89], 0// 00000001135C: D3F30008 1A02B1A0
	buffer_load_dwordx4 a[200:203], v91, s[24:27], 0 offen     // 000000011364: E05C1000 8086C85B
	v_mfma_f32_16x16x32_fp8_fp8 v[8:11], a[162:163], a[90:91], v[8:11]// 00000001136C: D3F30008 1C22B5A2
	v_mfma_f32_16x16x32_fp8_fp8 v[8:11], a[164:165], a[92:93], v[8:11]// 000000011374: D3F30008 1C22B9A4
	v_mfma_f32_16x16x32_fp8_fp8 v[8:11], a[166:167], a[94:95], v[8:11]// 00000001137C: D3F30008 1C22BDA6
	v_fma_f32 v132, v12, v4, v132                              // 000000011384: D1CB0084 0612090C
	v_fma_f32 v133, v13, v4, v133                              // 00000001138C: D1CB0085 0616090D
	v_fma_f32 v134, v14, v4, v134                              // 000000011394: D1CB0086 061A090E
	v_fma_f32 v135, v15, v4, v135                              // 00000001139C: D1CB0087 061E090F
	v_mfma_f32_16x16x32_fp8_fp8 v[12:15], a[168:169], a[88:89], 0// 0000000113A4: D3F3000C 1A02B1A8
	buffer_load_dwordx4 a[204:207], v91, s[24:27], 0 offen offset:1024// 0000000113AC: E05C1400 8086CC5B
	buffer_load_dword v70, s[20:23], 0 offen lds               // 0000000113B4: E0511000 80050046
	s_add_u32 m0, 0x100, s50                                   // 0000000113BC: 807C32FF 00000100
	v_mfma_f32_16x16x32_fp8_fp8 v[12:15], a[170:171], a[90:91], v[12:15]// 0000000113C4: D3F3000C 1C32B5AA
	v_mfma_f32_16x16x32_fp8_fp8 v[12:15], a[172:173], a[92:93], v[12:15]// 0000000113CC: D3F3000C 1C32B9AC
	buffer_load_dword v71, s[20:23], 0 offen lds               // 0000000113D4: E0511000 80050047
	s_add_u32 m0, 0x200, s50                                   // 0000000113DC: 807C32FF 00000200
	v_mfma_f32_16x16x32_fp8_fp8 v[12:15], a[174:175], a[94:95], v[12:15]// 0000000113E4: D3F3000C 1C32BDAE
	v_fma_f32 v96, v8, v6, v96                                 // 0000000113EC: D1CB0060 05820D08
	v_fma_f32 v97, v9, v6, v97                                 // 0000000113F4: D1CB0061 05860D09
	v_fma_f32 v98, v10, v6, v98                                // 0000000113FC: D1CB0062 058A0D0A
	v_fma_f32 v99, v11, v6, v99                                // 000000011404: D1CB0063 058E0D0B
	v_mul_f32_dpp v4, v24, v42 row_newbcast:0 row_mask:0xf bank_mask:0xf// 00000001140C: 0A0854FA FF015018
	v_mfma_f32_16x16x32_fp8_fp8 v[8:11], a[160:161], a[96:97], 0// 000000011414: D3F30008 1A02C1A0
	buffer_load_dword v72, s[20:23], 0 offen lds               // 00000001141C: E0511000 80050048
	s_add_u32 m0, 0x300, s50                                   // 000000011424: 807C32FF 00000300
	v_mfma_f32_16x16x32_fp8_fp8 v[8:11], a[162:163], a[98:99], v[8:11]// 00000001142C: D3F30008 1C22C5A2
	v_mfma_f32_16x16x32_fp8_fp8 v[8:11], a[164:165], a[100:101], v[8:11]// 000000011434: D3F30008 1C22C9A4
	buffer_load_dword v73, s[20:23], 0 offen lds               // 00000001143C: E0511000 80050049
	s_add_u32 m0, 0x400, s50                                   // 000000011444: 807C32FF 00000400
	v_mfma_f32_16x16x32_fp8_fp8 v[8:11], a[166:167], a[102:103], v[8:11]// 00000001144C: D3F30008 1C22CDA6
	v_fma_f32 v136, v12, v6, v136                              // 000000011454: D1CB0088 06220D0C
	v_fma_f32 v137, v13, v6, v137                              // 00000001145C: D1CB0089 06260D0D
	v_fma_f32 v138, v14, v6, v138                              // 000000011464: D1CB008A 062A0D0E
	v_fma_f32 v139, v15, v6, v139                              // 00000001146C: D1CB008B 062E0D0F
	v_mfma_f32_16x16x32_fp8_fp8 v[12:15], a[168:169], a[96:97], 0// 000000011474: D3F3000C 1A02C1A8
	buffer_load_dword v74, s[20:23], 0 offen lds               // 00000001147C: E0511000 8005004A
	s_add_u32 m0, 0x500, s50                                   // 000000011484: 807C32FF 00000500
	v_mfma_f32_16x16x32_fp8_fp8 v[12:15], a[170:171], a[98:99], v[12:15]// 00000001148C: D3F3000C 1C32C5AA
	v_mfma_f32_16x16x32_fp8_fp8 v[12:15], a[172:173], a[100:101], v[12:15]// 000000011494: D3F3000C 1C32C9AC
	buffer_load_dword v75, s[20:23], 0 offen lds               // 00000001149C: E0511000 8005004B
	s_add_u32 m0, 0x600, s50                                   // 0000000114A4: 807C32FF 00000600
	v_mfma_f32_16x16x32_fp8_fp8 v[12:15], a[174:175], a[102:103], v[12:15]// 0000000114AC: D3F3000C 1C32CDAE
	v_fma_f32 v100, v8, v4, v100                               // 0000000114B4: D1CB0064 05920908
	v_fma_f32 v101, v9, v4, v101                               // 0000000114BC: D1CB0065 05960909
	v_fma_f32 v102, v10, v4, v102                              // 0000000114C4: D1CB0066 059A090A
	v_fma_f32 v103, v11, v4, v103                              // 0000000114CC: D1CB0067 059E090B
	v_mul_f32_dpp v6, v24, v43 row_newbcast:0 row_mask:0xf bank_mask:0xf// 0000000114D4: 0A0C56FA FF015018
	v_mfma_f32_16x16x32_fp8_fp8 v[8:11], a[160:161], a[104:105], 0// 0000000114DC: D3F30008 1A02D1A0
	buffer_load_dword v76, s[20:23], 0 offen lds               // 0000000114E4: E0511000 8005004C
	s_add_u32 m0, 0x700, s50                                   // 0000000114EC: 807C32FF 00000700
	v_mfma_f32_16x16x32_fp8_fp8 v[8:11], a[162:163], a[106:107], v[8:11]// 0000000114F4: D3F30008 1C22D5A2
	v_mfma_f32_16x16x32_fp8_fp8 v[8:11], a[164:165], a[108:109], v[8:11]// 0000000114FC: D3F30008 1C22D9A4
	buffer_load_dword v77, s[20:23], 0 offen lds               // 000000011504: E0511000 8005004D
	s_add_u32 m0, 0x800, s50                                   // 00000001150C: 807C32FF 00000800
	v_mfma_f32_16x16x32_fp8_fp8 v[8:11], a[166:167], a[110:111], v[8:11]// 000000011514: D3F30008 1C22DDA6
	v_fma_f32 v140, v12, v4, v140                              // 00000001151C: D1CB008C 0632090C
	v_fma_f32 v141, v13, v4, v141                              // 000000011524: D1CB008D 0636090D
	v_fma_f32 v142, v14, v4, v142                              // 00000001152C: D1CB008E 063A090E
	v_fma_f32 v143, v15, v4, v143                              // 000000011534: D1CB008F 063E090F
	v_mfma_f32_16x16x32_fp8_fp8 v[12:15], a[168:169], a[104:105], 0// 00000001153C: D3F3000C 1A02D1A8
	buffer_load_dword v78, s[20:23], 0 offen lds               // 000000011544: E0511000 8005004E
	s_add_u32 m0, 0x900, s50                                   // 00000001154C: 807C32FF 00000900
	v_mfma_f32_16x16x32_fp8_fp8 v[12:15], a[170:171], a[106:107], v[12:15]// 000000011554: D3F3000C 1C32D5AA
	v_mfma_f32_16x16x32_fp8_fp8 v[12:15], a[172:173], a[108:109], v[12:15]// 00000001155C: D3F3000C 1C32D9AC
	buffer_load_dword v79, s[20:23], 0 offen lds               // 000000011564: E0511000 8005004F
	s_add_u32 m0, 0xa00, s50                                   // 00000001156C: 807C32FF 00000A00
	v_mfma_f32_16x16x32_fp8_fp8 v[12:15], a[174:175], a[110:111], v[12:15]// 000000011574: D3F3000C 1C32DDAE
	v_fma_f32 v104, v8, v6, v104                               // 00000001157C: D1CB0068 05A20D08
	v_fma_f32 v105, v9, v6, v105                               // 000000011584: D1CB0069 05A60D09
	v_fma_f32 v106, v10, v6, v106                              // 00000001158C: D1CB006A 05AA0D0A
	v_fma_f32 v107, v11, v6, v107                              // 000000011594: D1CB006B 05AE0D0B
	v_mul_f32_dpp v4, v24, v44 row_newbcast:0 row_mask:0xf bank_mask:0xf// 00000001159C: 0A0858FA FF015018
	v_mfma_f32_16x16x32_fp8_fp8 v[8:11], a[160:161], a[112:113], 0// 0000000115A4: D3F30008 1A02E1A0
	buffer_load_dword v80, s[20:23], 0 offen lds               // 0000000115AC: E0511000 80050050
	s_add_u32 m0, 0xb00, s50                                   // 0000000115B4: 807C32FF 00000B00
	v_mfma_f32_16x16x32_fp8_fp8 v[8:11], a[162:163], a[114:115], v[8:11]// 0000000115BC: D3F30008 1C22E5A2
	v_mfma_f32_16x16x32_fp8_fp8 v[8:11], a[164:165], a[116:117], v[8:11]// 0000000115C4: D3F30008 1C22E9A4
	buffer_load_dword v81, s[20:23], 0 offen lds               // 0000000115CC: E0511000 80050051
	s_add_u32 m0, 0xc00, s50                                   // 0000000115D4: 807C32FF 00000C00
	v_mfma_f32_16x16x32_fp8_fp8 v[8:11], a[166:167], a[118:119], v[8:11]// 0000000115DC: D3F30008 1C22EDA6
	v_fma_f32 v144, v12, v6, v144                              // 0000000115E4: D1CB0090 06420D0C
	v_fma_f32 v145, v13, v6, v145                              // 0000000115EC: D1CB0091 06460D0D
	v_fma_f32 v146, v14, v6, v146                              // 0000000115F4: D1CB0092 064A0D0E
	v_fma_f32 v147, v15, v6, v147                              // 0000000115FC: D1CB0093 064E0D0F
	v_mfma_f32_16x16x32_fp8_fp8 v[12:15], a[168:169], a[112:113], 0// 000000011604: D3F3000C 1A02E1A8
	buffer_load_dword v82, s[20:23], 0 offen lds               // 00000001160C: E0511000 80050052
	s_add_u32 m0, 0xd00, s50                                   // 000000011614: 807C32FF 00000D00
	v_mfma_f32_16x16x32_fp8_fp8 v[12:15], a[170:171], a[114:115], v[12:15]// 00000001161C: D3F3000C 1C32E5AA
	v_mfma_f32_16x16x32_fp8_fp8 v[12:15], a[172:173], a[116:117], v[12:15]// 000000011624: D3F3000C 1C32E9AC
	buffer_load_dword v83, s[20:23], 0 offen lds               // 00000001162C: E0511000 80050053
	s_add_u32 m0, 0xe00, s50                                   // 000000011634: 807C32FF 00000E00
	v_mfma_f32_16x16x32_fp8_fp8 v[12:15], a[174:175], a[118:119], v[12:15]// 00000001163C: D3F3000C 1C32EDAE
	v_fma_f32 v108, v8, v4, v108                               // 000000011644: D1CB006C 05B20908
	v_fma_f32 v109, v9, v4, v109                               // 00000001164C: D1CB006D 05B60909
	v_fma_f32 v110, v10, v4, v110                              // 000000011654: D1CB006E 05BA090A
	v_fma_f32 v111, v11, v4, v111                              // 00000001165C: D1CB006F 05BE090B
	v_mul_f32_dpp v6, v24, v45 row_newbcast:0 row_mask:0xf bank_mask:0xf// 000000011664: 0A0C5AFA FF015018
	v_mfma_f32_16x16x32_fp8_fp8 v[8:11], a[160:161], a[120:121], 0// 00000001166C: D3F30008 1A02F1A0
	buffer_load_dword v84, s[20:23], 0 offen lds               // 000000011674: E0511000 80050054
	s_add_u32 m0, 0xf00, s50                                   // 00000001167C: 807C32FF 00000F00
	v_mfma_f32_16x16x32_fp8_fp8 v[8:11], a[162:163], a[122:123], v[8:11]// 000000011684: D3F30008 1C22F5A2
	v_mfma_f32_16x16x32_fp8_fp8 v[8:11], a[164:165], a[124:125], v[8:11]// 00000001168C: D3F30008 1C22F9A4
	buffer_load_dword v85, s[20:23], 0 offen lds               // 000000011694: E0511000 80050055
	s_add_u32 m0, 0x1000, s50                                  // 00000001169C: 807C32FF 00001000
	v_mfma_f32_16x16x32_fp8_fp8 v[8:11], a[166:167], a[126:127], v[8:11]// 0000000116A4: D3F30008 1C22FDA6
	v_fma_f32 v148, v12, v4, v148                              // 0000000116AC: D1CB0094 0652090C
	v_fma_f32 v149, v13, v4, v149                              // 0000000116B4: D1CB0095 0656090D
	v_fma_f32 v150, v14, v4, v150                              // 0000000116BC: D1CB0096 065A090E
	v_fma_f32 v151, v15, v4, v151                              // 0000000116C4: D1CB0097 065E090F
	v_mfma_f32_16x16x32_fp8_fp8 v[12:15], a[168:169], a[120:121], 0// 0000000116CC: D3F3000C 1A02F1A8
	buffer_load_dword v86, s[20:23], 0 offen lds               // 0000000116D4: E0511000 80050056
	s_add_u32 m0, 0x1100, s50                                  // 0000000116DC: 807C32FF 00001100
	v_mfma_f32_16x16x32_fp8_fp8 v[12:15], a[170:171], a[122:123], v[12:15]// 0000000116E4: D3F3000C 1C32F5AA
	v_mfma_f32_16x16x32_fp8_fp8 v[12:15], a[172:173], a[124:125], v[12:15]// 0000000116EC: D3F3000C 1C32F9AC
	buffer_load_dword v87, s[20:23], 0 offen lds               // 0000000116F4: E0511000 80050057
	s_add_u32 m0, 0x1200, s50                                  // 0000000116FC: 807C32FF 00001200
	v_mfma_f32_16x16x32_fp8_fp8 v[12:15], a[174:175], a[126:127], v[12:15]// 000000011704: D3F3000C 1C32FDAE
	v_fma_f32 v112, v8, v6, v112                               // 00000001170C: D1CB0070 05C20D08
	v_fma_f32 v113, v9, v6, v113                               // 000000011714: D1CB0071 05C60D09
	v_fma_f32 v114, v10, v6, v114                              // 00000001171C: D1CB0072 05CA0D0A
	v_fma_f32 v115, v11, v6, v115                              // 000000011724: D1CB0073 05CE0D0B
	v_mul_f32_dpp v4, v24, v46 row_newbcast:0 row_mask:0xf bank_mask:0xf// 00000001172C: 0A085CFA FF015018
	v_mfma_f32_16x16x32_fp8_fp8 v[8:11], a[160:161], a[128:129], 0// 000000011734: D3F30008 1A0301A0
	buffer_load_dword v88, s[20:23], 0 offen lds               // 00000001173C: E0511000 80050058
	s_add_u32 m0, 0x1300, s50                                  // 000000011744: 807C32FF 00001300
	v_mfma_f32_16x16x32_fp8_fp8 v[8:11], a[162:163], a[130:131], v[8:11]// 00000001174C: D3F30008 1C2305A2
	v_mfma_f32_16x16x32_fp8_fp8 v[8:11], a[164:165], a[132:133], v[8:11]// 000000011754: D3F30008 1C2309A4
	buffer_load_dword v89, s[20:23], 0 offen lds               // 00000001175C: E0511000 80050059
	s_add_u32 m0, 0, s48                                       // 000000011764: 807C3080
	v_mfma_f32_16x16x32_fp8_fp8 v[8:11], a[166:167], a[134:135], v[8:11]// 000000011768: D3F30008 1C230DA6
	v_fma_f32 v152, v12, v6, v152                              // 000000011770: D1CB0098 06620D0C
	v_fma_f32 v153, v13, v6, v153                              // 000000011778: D1CB0099 06660D0D
	v_fma_f32 v154, v14, v6, v154                              // 000000011780: D1CB009A 066A0D0E
	v_fma_f32 v155, v15, v6, v155                              // 000000011788: D1CB009B 066E0D0F
	v_mfma_f32_16x16x32_fp8_fp8 v[12:15], a[168:169], a[128:129], 0// 000000011790: D3F3000C 1A0301A8
	buffer_load_dword v60, v30, s[28:31], 0 offen              // 000000011798: E0501000 80073C1E
	v_mfma_f32_16x16x32_fp8_fp8 v[12:15], a[170:171], a[130:131], v[12:15]// 0000000117A0: D3F3000C 1C3305AA
	v_mfma_f32_16x16x32_fp8_fp8 v[12:15], a[172:173], a[132:133], v[12:15]// 0000000117A8: D3F3000C 1C3309AC
	buffer_load_dword v61, v31, s[28:31], 0 offen              // 0000000117B0: E0501000 80073D1F
	v_mfma_f32_16x16x32_fp8_fp8 v[12:15], a[174:175], a[134:135], v[12:15]// 0000000117B8: D3F3000C 1C330DAE
	v_fma_f32 v116, v8, v4, v116                               // 0000000117C0: D1CB0074 05D20908
	v_fma_f32 v117, v9, v4, v117                               // 0000000117C8: D1CB0075 05D60909
	v_fma_f32 v118, v10, v4, v118                              // 0000000117D0: D1CB0076 05DA090A
	v_fma_f32 v119, v11, v4, v119                              // 0000000117D8: D1CB0077 05DE090B
	v_mul_f32_dpp v6, v24, v47 row_newbcast:0 row_mask:0xf bank_mask:0xf// 0000000117E0: 0A0C5EFA FF015018
	v_mfma_f32_16x16x32_fp8_fp8 v[8:11], a[160:161], a[136:137], 0// 0000000117E8: D3F30008 1A0311A0
	buffer_load_dword v62, v32, s[28:31], 0 offen              // 0000000117F0: E0501000 80073E20
	v_mfma_f32_16x16x32_fp8_fp8 v[8:11], a[162:163], a[138:139], v[8:11]// 0000000117F8: D3F30008 1C2315A2
	v_mfma_f32_16x16x32_fp8_fp8 v[8:11], a[164:165], a[140:141], v[8:11]// 000000011800: D3F30008 1C2319A4
	buffer_load_dword v63, v33, s[28:31], 0 offen              // 000000011808: E0501000 80073F21
	v_mfma_f32_16x16x32_fp8_fp8 v[8:11], a[166:167], a[142:143], v[8:11]// 000000011810: D3F30008 1C231DA6
	v_fma_f32 v156, v12, v4, v156                              // 000000011818: D1CB009C 0672090C
	v_fma_f32 v157, v13, v4, v157                              // 000000011820: D1CB009D 0676090D
	v_fma_f32 v158, v14, v4, v158                              // 000000011828: D1CB009E 067A090E
	v_fma_f32 v159, v15, v4, v159                              // 000000011830: D1CB009F 067E090F
	v_mfma_f32_16x16x32_fp8_fp8 v[12:15], a[168:169], a[136:137], 0// 000000011838: D3F3000C 1A0311A8
	buffer_load_dword v64, v34, s[28:31], 0 offen              // 000000011840: E0501000 80074022
	v_mfma_f32_16x16x32_fp8_fp8 v[12:15], a[170:171], a[138:139], v[12:15]// 000000011848: D3F3000C 1C3315AA
	v_mfma_f32_16x16x32_fp8_fp8 v[12:15], a[172:173], a[140:141], v[12:15]// 000000011850: D3F3000C 1C3319AC
	buffer_load_dword v65, v35, s[28:31], 0 offen              // 000000011858: E0501000 80074123
	v_mfma_f32_16x16x32_fp8_fp8 v[12:15], a[174:175], a[142:143], v[12:15]// 000000011860: D3F3000C 1C331DAE
	v_fma_f32 v120, v8, v6, v120                               // 000000011868: D1CB0078 05E20D08
	v_fma_f32 v121, v9, v6, v121                               // 000000011870: D1CB0079 05E60D09
	v_fma_f32 v122, v10, v6, v122                              // 000000011878: D1CB007A 05EA0D0A
	v_fma_f32 v123, v11, v6, v123                              // 000000011880: D1CB007B 05EE0D0B
	v_mul_f32_dpp v4, v24, v48 row_newbcast:0 row_mask:0xf bank_mask:0xf// 000000011888: 0A0860FA FF015018
	v_mfma_f32_16x16x32_fp8_fp8 v[8:11], a[160:161], a[144:145], 0// 000000011890: D3F30008 1A0321A0
	buffer_load_dword v66, v36, s[28:31], 0 offen              // 000000011898: E0501000 80074224
	v_mfma_f32_16x16x32_fp8_fp8 v[8:11], a[162:163], a[146:147], v[8:11]// 0000000118A0: D3F30008 1C2325A2
	v_mfma_f32_16x16x32_fp8_fp8 v[8:11], a[164:165], a[148:149], v[8:11]// 0000000118A8: D3F30008 1C2329A4
	buffer_load_dword v67, v37, s[28:31], 0 offen              // 0000000118B0: E0501000 80074325
	v_mfma_f32_16x16x32_fp8_fp8 v[8:11], a[166:167], a[150:151], v[8:11]// 0000000118B8: D3F30008 1C232DA6
	v_fma_f32 v160, v12, v6, v160                              // 0000000118C0: D1CB00A0 06820D0C
	v_fma_f32 v161, v13, v6, v161                              // 0000000118C8: D1CB00A1 06860D0D
	v_fma_f32 v162, v14, v6, v162                              // 0000000118D0: D1CB00A2 068A0D0E
	v_fma_f32 v163, v15, v6, v163                              // 0000000118D8: D1CB00A3 068E0D0F
	v_mfma_f32_16x16x32_fp8_fp8 v[12:15], a[168:169], a[144:145], 0// 0000000118E0: D3F3000C 1A0321A8
	buffer_load_dword v68, v38, s[28:31], 0 offen              // 0000000118E8: E0501000 80074426
	v_mfma_f32_16x16x32_fp8_fp8 v[12:15], a[170:171], a[146:147], v[12:15]// 0000000118F0: D3F3000C 1C3325AA
	v_mfma_f32_16x16x32_fp8_fp8 v[12:15], a[172:173], a[148:149], v[12:15]// 0000000118F8: D3F3000C 1C3329AC
	buffer_load_dword v69, v39, s[28:31], 0 offen              // 000000011900: E0501000 80074527
	v_mfma_f32_16x16x32_fp8_fp8 v[12:15], a[174:175], a[150:151], v[12:15]// 000000011908: D3F3000C 1C332DAE
	v_fma_f32 v124, v8, v4, v124                               // 000000011910: D1CB007C 05F20908
	v_fma_f32 v125, v9, v4, v125                               // 000000011918: D1CB007D 05F60909
	v_fma_f32 v126, v10, v4, v126                              // 000000011920: D1CB007E 05FA090A
	v_fma_f32 v127, v11, v4, v127                              // 000000011928: D1CB007F 05FE090B
	v_mul_f32_dpp v6, v24, v49 row_newbcast:0 row_mask:0xf bank_mask:0xf// 000000011930: 0A0C62FA FF015018
	v_mfma_f32_16x16x32_fp8_fp8 v[8:11], a[160:161], a[152:153], 0// 000000011938: D3F30008 1A0331A0
	v_mfma_f32_16x16x32_fp8_fp8 v[8:11], a[162:163], a[154:155], v[8:11]// 000000011940: D3F30008 1C2335A2
	v_mfma_f32_16x16x32_fp8_fp8 v[8:11], a[164:165], a[156:157], v[8:11]// 000000011948: D3F30008 1C2339A4
	v_mfma_f32_16x16x32_fp8_fp8 v[8:11], a[166:167], a[158:159], v[8:11]// 000000011950: D3F30008 1C233DA6
	v_fma_f32 v164, v12, v4, v164                              // 000000011958: D1CB00A4 0692090C
	v_fma_f32 v165, v13, v4, v165                              // 000000011960: D1CB00A5 0696090D
	v_fma_f32 v166, v14, v4, v166                              // 000000011968: D1CB00A6 069A090E
	v_fma_f32 v167, v15, v4, v167                              // 000000011970: D1CB00A7 069E090F
	v_mfma_f32_16x16x32_fp8_fp8 v[12:15], a[168:169], a[152:153], 0// 000000011978: D3F3000C 1A0331A8
	v_mfma_f32_16x16x32_fp8_fp8 v[12:15], a[170:171], a[154:155], v[12:15]// 000000011980: D3F3000C 1C3335AA
	v_mfma_f32_16x16x32_fp8_fp8 v[12:15], a[172:173], a[156:157], v[12:15]// 000000011988: D3F3000C 1C3339AC
	v_mfma_f32_16x16x32_fp8_fp8 v[12:15], a[174:175], a[158:159], v[12:15]// 000000011990: D3F3000C 1C333DAE
	v_fma_f32 v128, v8, v6, v128                               // 000000011998: D1CB0080 06020D08
	v_fma_f32 v129, v9, v6, v129                               // 0000000119A0: D1CB0081 06060D09
	v_fma_f32 v130, v10, v6, v130                              // 0000000119A8: D1CB0082 060A0D0A
	v_fma_f32 v131, v11, v6, v131                              // 0000000119B0: D1CB0083 060E0D0B
	v_fma_f32 v168, v12, v6, v168                              // 0000000119B8: D1CB00A8 06A20D0C
	v_fma_f32 v169, v13, v6, v169                              // 0000000119C0: D1CB00A9 06A60D0D
	v_fma_f32 v170, v14, v6, v170                              // 0000000119C8: D1CB00AA 06AA0D0E
	v_fma_f32 v171, v15, v6, v171                              // 0000000119D0: D1CB00AB 06AE0D0F
	s_waitcnt vmcnt(35)                                        // 0000000119D8: BF8C8F73
	s_barrier                                                  // 0000000119DC: BF8A0000
	v_mul_f32_dpp v4, v27, v40 row_newbcast:0 row_mask:0xf bank_mask:0xf// 0000000119E0: 0A0850FA FF01501B
	v_mfma_f32_16x16x32_fp8_fp8 v[8:11], a[176:177], a[80:81], 0// 0000000119E8: D3F30008 1A02A1B0
	buffer_load_dword v28, v23, s[32:35], 0 offen              // 0000000119F0: E0501000 80081C17
	buffer_load_dwordx4 a[160:163], v90, s[84:87], 0 offen     // 0000000119F8: E05C1000 8095A05A
	v_mfma_f32_16x16x32_fp8_fp8 v[8:11], a[178:179], a[82:83], v[8:11]// 000000011A00: D3F30008 1C22A5B2
	v_mfma_f32_16x16x32_fp8_fp8 v[8:11], a[180:181], a[84:85], v[8:11]// 000000011A08: D3F30008 1C22A9B4
	ds_read_b128 a[0:3], v2 offset:20608                       // 000000011A10: DBFE5080 00000002
	ds_read_b128 a[4:7], v2 offset:20672                       // 000000011A18: DBFE50C0 04000002
	v_mfma_f32_16x16x32_fp8_fp8 v[8:11], a[182:183], a[86:87], v[8:11]// 000000011A20: D3F30008 1C22ADB6
	v_mfma_f32_16x16x32_fp8_fp8 v[12:15], a[184:185], a[80:81], 0// 000000011A28: D3F3000C 1A02A1B8
	buffer_load_dwordx4 a[164:167], v90, s[84:87], 0 offen offset:1024// 000000011A30: E05C1400 8095A45A
	v_mfma_f32_16x16x32_fp8_fp8 v[12:15], a[186:187], a[82:83], v[12:15]// 000000011A38: D3F3000C 1C32A5BA
	v_mfma_f32_16x16x32_fp8_fp8 v[12:15], a[188:189], a[84:85], v[12:15]// 000000011A40: D3F3000C 1C32A9BC
	ds_read_b128 a[8:11], v2 offset:21120                      // 000000011A48: DBFE5280 08000002
	ds_read_b128 a[12:15], v2 offset:21184                     // 000000011A50: DBFE52C0 0C000002
	v_mfma_f32_16x16x32_fp8_fp8 v[12:15], a[190:191], a[86:87], v[12:15]// 000000011A58: D3F3000C 1C32ADBE
	v_fma_f32 v172, v8, v4, v172                               // 000000011A60: D1CB00AC 06B20908
	v_fma_f32 v173, v9, v4, v173                               // 000000011A68: D1CB00AD 06B60909
	v_fma_f32 v174, v10, v4, v174                              // 000000011A70: D1CB00AE 06BA090A
	v_fma_f32 v175, v11, v4, v175                              // 000000011A78: D1CB00AF 06BE090B
	v_mul_f32_dpp v6, v27, v41 row_newbcast:0 row_mask:0xf bank_mask:0xf// 000000011A80: 0A0C52FA FF01501B
	v_mfma_f32_16x16x32_fp8_fp8 v[8:11], a[176:177], a[88:89], 0// 000000011A88: D3F30008 1A02B1B0
	buffer_load_dwordx4 a[168:171], v91, s[84:87], 0 offen     // 000000011A90: E05C1000 8095A85B
	v_mfma_f32_16x16x32_fp8_fp8 v[8:11], a[178:179], a[90:91], v[8:11]// 000000011A98: D3F30008 1C22B5B2
	v_mfma_f32_16x16x32_fp8_fp8 v[8:11], a[180:181], a[92:93], v[8:11]// 000000011AA0: D3F30008 1C22B9B4
	ds_read_b128 a[16:19], v2 offset:21632                     // 000000011AA8: DBFE5480 10000002
	ds_read_b128 a[20:23], v2 offset:21696                     // 000000011AB0: DBFE54C0 14000002
	v_mfma_f32_16x16x32_fp8_fp8 v[8:11], a[182:183], a[94:95], v[8:11]// 000000011AB8: D3F30008 1C22BDB6
	v_fma_f32 v212, v12, v4, v212                              // 000000011AC0: D1CB00D4 0752090C
	v_fma_f32 v213, v13, v4, v213                              // 000000011AC8: D1CB00D5 0756090D
	v_fma_f32 v214, v14, v4, v214                              // 000000011AD0: D1CB00D6 075A090E
	v_fma_f32 v215, v15, v4, v215                              // 000000011AD8: D1CB00D7 075E090F
	v_mfma_f32_16x16x32_fp8_fp8 v[12:15], a[184:185], a[88:89], 0// 000000011AE0: D3F3000C 1A02B1B8
	buffer_load_dwordx4 a[172:175], v91, s[84:87], 0 offen offset:1024// 000000011AE8: E05C1400 8095AC5B
	v_mfma_f32_16x16x32_fp8_fp8 v[12:15], a[186:187], a[90:91], v[12:15]// 000000011AF0: D3F3000C 1C32B5BA
	v_mfma_f32_16x16x32_fp8_fp8 v[12:15], a[188:189], a[92:93], v[12:15]// 000000011AF8: D3F3000C 1C32B9BC
	ds_read_b128 a[24:27], v2 offset:22144                     // 000000011B00: DBFE5680 18000002
	ds_read_b128 a[28:31], v2 offset:22208                     // 000000011B08: DBFE56C0 1C000002
	v_mfma_f32_16x16x32_fp8_fp8 v[12:15], a[190:191], a[94:95], v[12:15]// 000000011B10: D3F3000C 1C32BDBE
	v_fma_f32 v176, v8, v6, v176                               // 000000011B18: D1CB00B0 06C20D08
	v_fma_f32 v177, v9, v6, v177                               // 000000011B20: D1CB00B1 06C60D09
	v_fma_f32 v178, v10, v6, v178                              // 000000011B28: D1CB00B2 06CA0D0A
	v_fma_f32 v179, v11, v6, v179                              // 000000011B30: D1CB00B3 06CE0D0B
	v_mul_f32_dpp v4, v27, v42 row_newbcast:0 row_mask:0xf bank_mask:0xf// 000000011B38: 0A0854FA FF01501B
	v_mfma_f32_16x16x32_fp8_fp8 v[8:11], a[176:177], a[96:97], 0// 000000011B40: D3F30008 1A02C1B0
	v_mfma_f32_16x16x32_fp8_fp8 v[8:11], a[178:179], a[98:99], v[8:11]// 000000011B48: D3F30008 1C22C5B2
	v_mfma_f32_16x16x32_fp8_fp8 v[8:11], a[180:181], a[100:101], v[8:11]// 000000011B50: D3F30008 1C22C9B4
	ds_read_b128 a[32:35], v2 offset:22656                     // 000000011B58: DBFE5880 20000002
	ds_read_b128 a[36:39], v2 offset:22720                     // 000000011B60: DBFE58C0 24000002
	v_mfma_f32_16x16x32_fp8_fp8 v[8:11], a[182:183], a[102:103], v[8:11]// 000000011B68: D3F30008 1C22CDB6
	v_fma_f32 v216, v12, v6, v216                              // 000000011B70: D1CB00D8 07620D0C
	v_fma_f32 v217, v13, v6, v217                              // 000000011B78: D1CB00D9 07660D0D
	v_fma_f32 v218, v14, v6, v218                              // 000000011B80: D1CB00DA 076A0D0E
	v_fma_f32 v219, v15, v6, v219                              // 000000011B88: D1CB00DB 076E0D0F
	v_mfma_f32_16x16x32_fp8_fp8 v[12:15], a[184:185], a[96:97], 0// 000000011B90: D3F3000C 1A02C1B8
	v_mfma_f32_16x16x32_fp8_fp8 v[12:15], a[186:187], a[98:99], v[12:15]// 000000011B98: D3F3000C 1C32C5BA
	v_mfma_f32_16x16x32_fp8_fp8 v[12:15], a[188:189], a[100:101], v[12:15]// 000000011BA0: D3F3000C 1C32C9BC
	ds_read_b128 a[40:43], v2 offset:23168                     // 000000011BA8: DBFE5A80 28000002
	ds_read_b128 a[44:47], v2 offset:23232                     // 000000011BB0: DBFE5AC0 2C000002
	v_mfma_f32_16x16x32_fp8_fp8 v[12:15], a[190:191], a[102:103], v[12:15]// 000000011BB8: D3F3000C 1C32CDBE
	v_fma_f32 v180, v8, v4, v180                               // 000000011BC0: D1CB00B4 06D20908
	v_fma_f32 v181, v9, v4, v181                               // 000000011BC8: D1CB00B5 06D60909
	v_fma_f32 v182, v10, v4, v182                              // 000000011BD0: D1CB00B6 06DA090A
	v_fma_f32 v183, v11, v4, v183                              // 000000011BD8: D1CB00B7 06DE090B
	v_mul_f32_dpp v6, v27, v43 row_newbcast:0 row_mask:0xf bank_mask:0xf// 000000011BE0: 0A0C56FA FF01501B
	v_mfma_f32_16x16x32_fp8_fp8 v[8:11], a[176:177], a[104:105], 0// 000000011BE8: D3F30008 1A02D1B0
	v_mfma_f32_16x16x32_fp8_fp8 v[8:11], a[178:179], a[106:107], v[8:11]// 000000011BF0: D3F30008 1C22D5B2
	v_mfma_f32_16x16x32_fp8_fp8 v[8:11], a[180:181], a[108:109], v[8:11]// 000000011BF8: D3F30008 1C22D9B4
	ds_read_b128 a[48:51], v2 offset:23680                     // 000000011C00: DBFE5C80 30000002
	ds_read_b128 a[52:55], v2 offset:23744                     // 000000011C08: DBFE5CC0 34000002
	v_mfma_f32_16x16x32_fp8_fp8 v[8:11], a[182:183], a[110:111], v[8:11]// 000000011C10: D3F30008 1C22DDB6
	v_fma_f32 v220, v12, v4, v220                              // 000000011C18: D1CB00DC 0772090C
	v_fma_f32 v221, v13, v4, v221                              // 000000011C20: D1CB00DD 0776090D
	v_fma_f32 v222, v14, v4, v222                              // 000000011C28: D1CB00DE 077A090E
	v_fma_f32 v223, v15, v4, v223                              // 000000011C30: D1CB00DF 077E090F
	v_mfma_f32_16x16x32_fp8_fp8 v[12:15], a[184:185], a[104:105], 0// 000000011C38: D3F3000C 1A02D1B8
	v_mfma_f32_16x16x32_fp8_fp8 v[12:15], a[186:187], a[106:107], v[12:15]// 000000011C40: D3F3000C 1C32D5BA
	v_mfma_f32_16x16x32_fp8_fp8 v[12:15], a[188:189], a[108:109], v[12:15]// 000000011C48: D3F3000C 1C32D9BC
	ds_read_b128 a[56:59], v2 offset:24192                     // 000000011C50: DBFE5E80 38000002
	ds_read_b128 a[60:63], v2 offset:24256                     // 000000011C58: DBFE5EC0 3C000002
	v_mfma_f32_16x16x32_fp8_fp8 v[12:15], a[190:191], a[110:111], v[12:15]// 000000011C60: D3F3000C 1C32DDBE
	v_fma_f32 v184, v8, v6, v184                               // 000000011C68: D1CB00B8 06E20D08
	v_fma_f32 v185, v9, v6, v185                               // 000000011C70: D1CB00B9 06E60D09
	v_fma_f32 v186, v10, v6, v186                              // 000000011C78: D1CB00BA 06EA0D0A
	v_fma_f32 v187, v11, v6, v187                              // 000000011C80: D1CB00BB 06EE0D0B
	v_mul_f32_dpp v4, v27, v44 row_newbcast:0 row_mask:0xf bank_mask:0xf// 000000011C88: 0A0858FA FF01501B
	v_mfma_f32_16x16x32_fp8_fp8 v[8:11], a[176:177], a[112:113], 0// 000000011C90: D3F30008 1A02E1B0
	v_mfma_f32_16x16x32_fp8_fp8 v[8:11], a[178:179], a[114:115], v[8:11]// 000000011C98: D3F30008 1C22E5B2
	v_mfma_f32_16x16x32_fp8_fp8 v[8:11], a[180:181], a[116:117], v[8:11]// 000000011CA0: D3F30008 1C22E9B4
	ds_read_b128 a[64:67], v2 offset:24704                     // 000000011CA8: DBFE6080 40000002
	ds_read_b128 a[68:71], v2 offset:24768                     // 000000011CB0: DBFE60C0 44000002
	v_mfma_f32_16x16x32_fp8_fp8 v[8:11], a[182:183], a[118:119], v[8:11]// 000000011CB8: D3F30008 1C22EDB6
	v_fma_f32 v224, v12, v6, v224                              // 000000011CC0: D1CB00E0 07820D0C
	v_fma_f32 v225, v13, v6, v225                              // 000000011CC8: D1CB00E1 07860D0D
	v_fma_f32 v226, v14, v6, v226                              // 000000011CD0: D1CB00E2 078A0D0E
	v_fma_f32 v227, v15, v6, v227                              // 000000011CD8: D1CB00E3 078E0D0F
	v_mfma_f32_16x16x32_fp8_fp8 v[12:15], a[184:185], a[112:113], 0// 000000011CE0: D3F3000C 1A02E1B8
	v_mfma_f32_16x16x32_fp8_fp8 v[12:15], a[186:187], a[114:115], v[12:15]// 000000011CE8: D3F3000C 1C32E5BA
	v_mfma_f32_16x16x32_fp8_fp8 v[12:15], a[188:189], a[116:117], v[12:15]// 000000011CF0: D3F3000C 1C32E9BC
	ds_read_b128 a[72:75], v2 offset:25216                     // 000000011CF8: DBFE6280 48000002
	ds_read_b128 a[76:79], v2 offset:25280                     // 000000011D00: DBFE62C0 4C000002
	v_mfma_f32_16x16x32_fp8_fp8 v[12:15], a[190:191], a[118:119], v[12:15]// 000000011D08: D3F3000C 1C32EDBE
	v_fma_f32 v188, v8, v4, v188                               // 000000011D10: D1CB00BC 06F20908
	v_fma_f32 v189, v9, v4, v189                               // 000000011D18: D1CB00BD 06F60909
	v_fma_f32 v190, v10, v4, v190                              // 000000011D20: D1CB00BE 06FA090A
	v_fma_f32 v191, v11, v4, v191                              // 000000011D28: D1CB00BF 06FE090B
	v_mul_f32_dpp v6, v27, v45 row_newbcast:0 row_mask:0xf bank_mask:0xf// 000000011D30: 0A0C5AFA FF01501B
	v_mfma_f32_16x16x32_fp8_fp8 v[8:11], a[176:177], a[120:121], 0// 000000011D38: D3F30008 1A02F1B0
	v_mfma_f32_16x16x32_fp8_fp8 v[8:11], a[178:179], a[122:123], v[8:11]// 000000011D40: D3F30008 1C22F5B2
	v_mfma_f32_16x16x32_fp8_fp8 v[8:11], a[180:181], a[124:125], v[8:11]// 000000011D48: D3F30008 1C22F9B4
	v_mfma_f32_16x16x32_fp8_fp8 v[8:11], a[182:183], a[126:127], v[8:11]// 000000011D50: D3F30008 1C22FDB6
	v_fma_f32 v228, v12, v4, v228                              // 000000011D58: D1CB00E4 0792090C
	v_fma_f32 v229, v13, v4, v229                              // 000000011D60: D1CB00E5 0796090D
	v_fma_f32 v230, v14, v4, v230                              // 000000011D68: D1CB00E6 079A090E
	v_fma_f32 v231, v15, v4, v231                              // 000000011D70: D1CB00E7 079E090F
	v_mfma_f32_16x16x32_fp8_fp8 v[12:15], a[184:185], a[120:121], 0// 000000011D78: D3F3000C 1A02F1B8
	v_mfma_f32_16x16x32_fp8_fp8 v[12:15], a[186:187], a[122:123], v[12:15]// 000000011D80: D3F3000C 1C32F5BA
	v_mfma_f32_16x16x32_fp8_fp8 v[12:15], a[188:189], a[124:125], v[12:15]// 000000011D88: D3F3000C 1C32F9BC
	v_mfma_f32_16x16x32_fp8_fp8 v[12:15], a[190:191], a[126:127], v[12:15]// 000000011D90: D3F3000C 1C32FDBE
	v_fma_f32 v192, v8, v6, v192                               // 000000011D98: D1CB00C0 07020D08
	v_fma_f32 v193, v9, v6, v193                               // 000000011DA0: D1CB00C1 07060D09
	v_fma_f32 v194, v10, v6, v194                              // 000000011DA8: D1CB00C2 070A0D0A
	v_fma_f32 v195, v11, v6, v195                              // 000000011DB0: D1CB00C3 070E0D0B
	v_mul_f32_dpp v4, v27, v46 row_newbcast:0 row_mask:0xf bank_mask:0xf// 000000011DB8: 0A085CFA FF01501B
	v_mfma_f32_16x16x32_fp8_fp8 v[8:11], a[176:177], a[128:129], 0// 000000011DC0: D3F30008 1A0301B0
	v_mfma_f32_16x16x32_fp8_fp8 v[8:11], a[178:179], a[130:131], v[8:11]// 000000011DC8: D3F30008 1C2305B2
	v_mfma_f32_16x16x32_fp8_fp8 v[8:11], a[180:181], a[132:133], v[8:11]// 000000011DD0: D3F30008 1C2309B4
	v_mfma_f32_16x16x32_fp8_fp8 v[8:11], a[182:183], a[134:135], v[8:11]// 000000011DD8: D3F30008 1C230DB6
	v_fma_f32 v232, v12, v6, v232                              // 000000011DE0: D1CB00E8 07A20D0C
	v_fma_f32 v233, v13, v6, v233                              // 000000011DE8: D1CB00E9 07A60D0D
	v_fma_f32 v234, v14, v6, v234                              // 000000011DF0: D1CB00EA 07AA0D0E
	v_fma_f32 v235, v15, v6, v235                              // 000000011DF8: D1CB00EB 07AE0D0F
	v_mfma_f32_16x16x32_fp8_fp8 v[12:15], a[184:185], a[128:129], 0// 000000011E00: D3F3000C 1A0301B8
	v_mfma_f32_16x16x32_fp8_fp8 v[12:15], a[186:187], a[130:131], v[12:15]// 000000011E08: D3F3000C 1C3305BA
	v_mfma_f32_16x16x32_fp8_fp8 v[12:15], a[188:189], a[132:133], v[12:15]// 000000011E10: D3F3000C 1C3309BC
	v_mfma_f32_16x16x32_fp8_fp8 v[12:15], a[190:191], a[134:135], v[12:15]// 000000011E18: D3F3000C 1C330DBE
	v_fma_f32 v196, v8, v4, v196                               // 000000011E20: D1CB00C4 07120908
	v_fma_f32 v197, v9, v4, v197                               // 000000011E28: D1CB00C5 07160909
	v_fma_f32 v198, v10, v4, v198                              // 000000011E30: D1CB00C6 071A090A
	v_fma_f32 v199, v11, v4, v199                              // 000000011E38: D1CB00C7 071E090B
	v_mul_f32_dpp v6, v27, v47 row_newbcast:0 row_mask:0xf bank_mask:0xf// 000000011E40: 0A0C5EFA FF01501B
	v_mfma_f32_16x16x32_fp8_fp8 v[8:11], a[176:177], a[136:137], 0// 000000011E48: D3F30008 1A0311B0
	v_mfma_f32_16x16x32_fp8_fp8 v[8:11], a[178:179], a[138:139], v[8:11]// 000000011E50: D3F30008 1C2315B2
	v_mfma_f32_16x16x32_fp8_fp8 v[8:11], a[180:181], a[140:141], v[8:11]// 000000011E58: D3F30008 1C2319B4
	v_mfma_f32_16x16x32_fp8_fp8 v[8:11], a[182:183], a[142:143], v[8:11]// 000000011E60: D3F30008 1C231DB6
	v_fma_f32 v236, v12, v4, v236                              // 000000011E68: D1CB00EC 07B2090C
	v_fma_f32 v237, v13, v4, v237                              // 000000011E70: D1CB00ED 07B6090D
	v_fma_f32 v238, v14, v4, v238                              // 000000011E78: D1CB00EE 07BA090E
	v_fma_f32 v239, v15, v4, v239                              // 000000011E80: D1CB00EF 07BE090F
	v_mfma_f32_16x16x32_fp8_fp8 v[12:15], a[184:185], a[136:137], 0// 000000011E88: D3F3000C 1A0311B8
	v_mfma_f32_16x16x32_fp8_fp8 v[12:15], a[186:187], a[138:139], v[12:15]// 000000011E90: D3F3000C 1C3315BA
	v_mfma_f32_16x16x32_fp8_fp8 v[12:15], a[188:189], a[140:141], v[12:15]// 000000011E98: D3F3000C 1C3319BC
	v_mfma_f32_16x16x32_fp8_fp8 v[12:15], a[190:191], a[142:143], v[12:15]// 000000011EA0: D3F3000C 1C331DBE
	v_fma_f32 v200, v8, v6, v200                               // 000000011EA8: D1CB00C8 07220D08
	v_fma_f32 v201, v9, v6, v201                               // 000000011EB0: D1CB00C9 07260D09
	v_fma_f32 v202, v10, v6, v202                              // 000000011EB8: D1CB00CA 072A0D0A
	v_fma_f32 v203, v11, v6, v203                              // 000000011EC0: D1CB00CB 072E0D0B
	v_mul_f32_dpp v4, v27, v48 row_newbcast:0 row_mask:0xf bank_mask:0xf// 000000011EC8: 0A0860FA FF01501B
	v_mfma_f32_16x16x32_fp8_fp8 v[8:11], a[176:177], a[144:145], 0// 000000011ED0: D3F30008 1A0321B0
	v_mfma_f32_16x16x32_fp8_fp8 v[8:11], a[178:179], a[146:147], v[8:11]// 000000011ED8: D3F30008 1C2325B2
	v_mfma_f32_16x16x32_fp8_fp8 v[8:11], a[180:181], a[148:149], v[8:11]// 000000011EE0: D3F30008 1C2329B4
	v_mfma_f32_16x16x32_fp8_fp8 v[8:11], a[182:183], a[150:151], v[8:11]// 000000011EE8: D3F30008 1C232DB6
	v_fma_f32 v240, v12, v6, v240                              // 000000011EF0: D1CB00F0 07C20D0C
	v_fma_f32 v241, v13, v6, v241                              // 000000011EF8: D1CB00F1 07C60D0D
	v_fma_f32 v242, v14, v6, v242                              // 000000011F00: D1CB00F2 07CA0D0E
	v_fma_f32 v243, v15, v6, v243                              // 000000011F08: D1CB00F3 07CE0D0F
	v_mfma_f32_16x16x32_fp8_fp8 v[12:15], a[184:185], a[144:145], 0// 000000011F10: D3F3000C 1A0321B8
	v_mfma_f32_16x16x32_fp8_fp8 v[12:15], a[186:187], a[146:147], v[12:15]// 000000011F18: D3F3000C 1C3325BA
	v_mfma_f32_16x16x32_fp8_fp8 v[12:15], a[188:189], a[148:149], v[12:15]// 000000011F20: D3F3000C 1C3329BC
	v_mfma_f32_16x16x32_fp8_fp8 v[12:15], a[190:191], a[150:151], v[12:15]// 000000011F28: D3F3000C 1C332DBE
	v_fma_f32 v204, v8, v4, v204                               // 000000011F30: D1CB00CC 07320908
	v_fma_f32 v205, v9, v4, v205                               // 000000011F38: D1CB00CD 07360909
	v_fma_f32 v206, v10, v4, v206                              // 000000011F40: D1CB00CE 073A090A
	v_fma_f32 v207, v11, v4, v207                              // 000000011F48: D1CB00CF 073E090B
	v_mul_f32_dpp v6, v27, v49 row_newbcast:0 row_mask:0xf bank_mask:0xf// 000000011F50: 0A0C62FA FF01501B
	v_mfma_f32_16x16x32_fp8_fp8 v[8:11], a[176:177], a[152:153], 0// 000000011F58: D3F30008 1A0331B0
	s_add_u32 s60, 0x180, s80                                  // 000000011F60: 803C50FF 00000180
	s_cmp_lt_u32 s60, s81                                      // 000000011F68: BF0A513C
	s_cselect_b32 s57, s57, 0                                  // 000000011F6C: 85398039
	s_cselect_b32 s3, s3, 0                                    // 000000011F70: 85038003
	v_mfma_f32_16x16x32_fp8_fp8 v[8:11], a[178:179], a[154:155], v[8:11]// 000000011F74: D3F30008 1C2335B2
	s_add_u32 s60, 0x100, s80                                  // 000000011F7C: 803C50FF 00000100
	s_cmp_lt_u32 s60, s81                                      // 000000011F84: BF0A513C
	s_cselect_b32 s58, s58, 0                                  // 000000011F88: 853A803A
	v_mfma_f32_16x16x32_fp8_fp8 v[8:11], a[180:181], a[156:157], v[8:11]// 000000011F8C: D3F30008 1C2339B4
	s_add_u32 s60, 0x100, s80                                  // 000000011F94: 803C50FF 00000100
	s_cmp_lt_u32 s60, s81                                      // 000000011F9C: BF0A513C
	s_cselect_b32 s83, s83, 0                                  // 000000011FA0: 85538053
	s_cselect_b32 s4, s4, 0                                    // 000000011FA4: 85048004
	v_mfma_f32_16x16x32_fp8_fp8 v[8:11], a[182:183], a[158:159], v[8:11]// 000000011FA8: D3F30008 1C233DB6
	s_add_u32 s24, s58, s24                                    // 000000011FB0: 8018183A
	s_addc_u32 s25, 0, s25                                     // 000000011FB4: 82191980
	v_fma_f32 v244, v12, v4, v244                              // 000000011FB8: D1CB00F4 07D2090C
	v_fma_f32 v245, v13, v4, v245                              // 000000011FC0: D1CB00F5 07D6090D
	v_fma_f32 v246, v14, v4, v246                              // 000000011FC8: D1CB00F6 07DA090E
	v_fma_f32 v247, v15, v4, v247                              // 000000011FD0: D1CB00F7 07DE090F
	v_mfma_f32_16x16x32_fp8_fp8 v[12:15], a[184:185], a[152:153], 0// 000000011FD8: D3F3000C 1A0331B8
	s_add_u32 s20, s57, s20                                    // 000000011FE0: 80141439
	s_addc_u32 s21, 0, s21                                     // 000000011FE4: 82151580
	s_add_u32 s28, s3, s28                                     // 000000011FE8: 801C1C03
	s_addc_u32 s29, 0, s29                                     // 000000011FEC: 821D1D80
	v_mfma_f32_16x16x32_fp8_fp8 v[12:15], a[186:187], a[154:155], v[12:15]// 000000011FF0: D3F3000C 1C3335BA
	s_add_u32 s84, s83, s84                                    // 000000011FF8: 80545453
	s_addc_u32 s85, 0, s85                                     // 000000011FFC: 82555580
	v_mfma_f32_16x16x32_fp8_fp8 v[12:15], a[188:189], a[156:157], v[12:15]// 000000012000: D3F3000C 1C3339BC
	s_add_u32 s32, s4, s32                                     // 000000012008: 80202004
	s_addc_u32 s33, 0, s33                                     // 00000001200C: 82212180
	v_mfma_f32_16x16x32_fp8_fp8 v[12:15], a[190:191], a[158:159], v[12:15]// 000000012010: D3F3000C 1C333DBE
	v_fma_f32 v208, v8, v6, v208                               // 000000012018: D1CB00D0 07420D08
	v_fma_f32 v209, v9, v6, v209                               // 000000012020: D1CB00D1 07460D09
	v_fma_f32 v210, v10, v6, v210                              // 000000012028: D1CB00D2 074A0D0A
	v_fma_f32 v211, v11, v6, v211                              // 000000012030: D1CB00D3 074E0D0B
	v_fma_f32 v248, v12, v6, v248                              // 000000012038: D1CB00F8 07E20D0C
	v_fma_f32 v249, v13, v6, v249                              // 000000012040: D1CB00F9 07E60D0D
	v_fma_f32 v250, v14, v6, v250                              // 000000012048: D1CB00FA 07EA0D0E
	v_fma_f32 v251, v15, v6, v251                              // 000000012050: D1CB00FB 07EE0D0F
	s_addk_i32 s80, 0x80                                       // 000000012058: B7500080
	s_cmp_lt_i32 s80, s81                                      // 00000001205C: BF045150
	s_cbranch_scc0 label_4467                                  // 000000012060: BF8406CB
	s_waitcnt vmcnt(35) lgkmcnt(0)                             // 000000012064: BF8C8073
	v_mul_f32_dpp v4, v25, v50 row_newbcast:0 row_mask:0xf bank_mask:0xf// 000000012068: 0A0864FA FF015019
	v_mfma_f32_16x16x32_fp8_fp8 v[8:11], a[192:193], a[0:1], 0 // 000000012070: D3F30008 1A0201C0
	buffer_load_dword v26, v22, s[32:35], 0 offen              // 000000012078: E0501000 80081A16
	buffer_load_dwordx4 a[176:179], v90, s[24:27], 0 offen     // 000000012080: E05C1000 8086B05A
	v_mfma_f32_16x16x32_fp8_fp8 v[8:11], a[194:195], a[2:3], v[8:11]// 000000012088: D3F30008 1C2205C2
	v_mfma_f32_16x16x32_fp8_fp8 v[8:11], a[196:197], a[4:5], v[8:11]// 000000012090: D3F30008 1C2209C4
	v_mfma_f32_16x16x32_fp8_fp8 v[8:11], a[198:199], a[6:7], v[8:11]// 000000012098: D3F30008 1C220DC6
	v_mfma_f32_16x16x32_fp8_fp8 v[12:15], a[200:201], a[0:1], 0// 0000000120A0: D3F3000C 1A0201C8
	buffer_load_dwordx4 a[180:183], v90, s[24:27], 0 offen offset:1024// 0000000120A8: E05C1400 8086B45A
	v_mfma_f32_16x16x32_fp8_fp8 v[12:15], a[202:203], a[2:3], v[12:15]// 0000000120B0: D3F3000C 1C3205CA
	v_mfma_f32_16x16x32_fp8_fp8 v[12:15], a[204:205], a[4:5], v[12:15]// 0000000120B8: D3F3000C 1C3209CC
	v_mfma_f32_16x16x32_fp8_fp8 v[12:15], a[206:207], a[6:7], v[12:15]// 0000000120C0: D3F3000C 1C320DCE
	v_fma_f32 v92, v8, v4, v92                                 // 0000000120C8: D1CB005C 05720908
	v_fma_f32 v93, v9, v4, v93                                 // 0000000120D0: D1CB005D 05760909
	v_fma_f32 v94, v10, v4, v94                                // 0000000120D8: D1CB005E 057A090A
	v_fma_f32 v95, v11, v4, v95                                // 0000000120E0: D1CB005F 057E090B
	v_mul_f32_dpp v6, v25, v51 row_newbcast:0 row_mask:0xf bank_mask:0xf// 0000000120E8: 0A0C66FA FF015019
	v_mfma_f32_16x16x32_fp8_fp8 v[8:11], a[192:193], a[8:9], 0 // 0000000120F0: D3F30008 1A0211C0
	buffer_load_dwordx4 a[184:187], v91, s[24:27], 0 offen     // 0000000120F8: E05C1000 8086B85B
	v_mfma_f32_16x16x32_fp8_fp8 v[8:11], a[194:195], a[10:11], v[8:11]// 000000012100: D3F30008 1C2215C2
	v_mfma_f32_16x16x32_fp8_fp8 v[8:11], a[196:197], a[12:13], v[8:11]// 000000012108: D3F30008 1C2219C4
	v_mfma_f32_16x16x32_fp8_fp8 v[8:11], a[198:199], a[14:15], v[8:11]// 000000012110: D3F30008 1C221DC6
	v_fma_f32 v132, v12, v4, v132                              // 000000012118: D1CB0084 0612090C
	v_fma_f32 v133, v13, v4, v133                              // 000000012120: D1CB0085 0616090D
	v_fma_f32 v134, v14, v4, v134                              // 000000012128: D1CB0086 061A090E
	v_fma_f32 v135, v15, v4, v135                              // 000000012130: D1CB0087 061E090F
	v_mfma_f32_16x16x32_fp8_fp8 v[12:15], a[200:201], a[8:9], 0// 000000012138: D3F3000C 1A0211C8
	buffer_load_dwordx4 a[188:191], v91, s[24:27], 0 offen offset:1024// 000000012140: E05C1400 8086BC5B
	buffer_load_dword v70, s[20:23], 0 offen lds               // 000000012148: E0511000 80050046
	s_add_u32 m0, 0x100, s48                                   // 000000012150: 807C30FF 00000100
	v_mfma_f32_16x16x32_fp8_fp8 v[12:15], a[202:203], a[10:11], v[12:15]// 000000012158: D3F3000C 1C3215CA
	v_mfma_f32_16x16x32_fp8_fp8 v[12:15], a[204:205], a[12:13], v[12:15]// 000000012160: D3F3000C 1C3219CC
	buffer_load_dword v71, s[20:23], 0 offen lds               // 000000012168: E0511000 80050047
	s_add_u32 m0, 0x200, s48                                   // 000000012170: 807C30FF 00000200
	v_mfma_f32_16x16x32_fp8_fp8 v[12:15], a[206:207], a[14:15], v[12:15]// 000000012178: D3F3000C 1C321DCE
	v_fma_f32 v96, v8, v6, v96                                 // 000000012180: D1CB0060 05820D08
	v_fma_f32 v97, v9, v6, v97                                 // 000000012188: D1CB0061 05860D09
	v_fma_f32 v98, v10, v6, v98                                // 000000012190: D1CB0062 058A0D0A
	v_fma_f32 v99, v11, v6, v99                                // 000000012198: D1CB0063 058E0D0B
	v_mul_f32_dpp v4, v25, v52 row_newbcast:0 row_mask:0xf bank_mask:0xf// 0000000121A0: 0A0868FA FF015019
	v_mfma_f32_16x16x32_fp8_fp8 v[8:11], a[192:193], a[16:17], 0// 0000000121A8: D3F30008 1A0221C0
	buffer_load_dword v72, s[20:23], 0 offen lds               // 0000000121B0: E0511000 80050048
	s_add_u32 m0, 0x300, s48                                   // 0000000121B8: 807C30FF 00000300
	v_mfma_f32_16x16x32_fp8_fp8 v[8:11], a[194:195], a[18:19], v[8:11]// 0000000121C0: D3F30008 1C2225C2
	v_mfma_f32_16x16x32_fp8_fp8 v[8:11], a[196:197], a[20:21], v[8:11]// 0000000121C8: D3F30008 1C2229C4
	buffer_load_dword v73, s[20:23], 0 offen lds               // 0000000121D0: E0511000 80050049
	s_add_u32 m0, 0x400, s48                                   // 0000000121D8: 807C30FF 00000400
	v_mfma_f32_16x16x32_fp8_fp8 v[8:11], a[198:199], a[22:23], v[8:11]// 0000000121E0: D3F30008 1C222DC6
	v_fma_f32 v136, v12, v6, v136                              // 0000000121E8: D1CB0088 06220D0C
	v_fma_f32 v137, v13, v6, v137                              // 0000000121F0: D1CB0089 06260D0D
	v_fma_f32 v138, v14, v6, v138                              // 0000000121F8: D1CB008A 062A0D0E
	v_fma_f32 v139, v15, v6, v139                              // 000000012200: D1CB008B 062E0D0F
	v_mfma_f32_16x16x32_fp8_fp8 v[12:15], a[200:201], a[16:17], 0// 000000012208: D3F3000C 1A0221C8
	buffer_load_dword v74, s[20:23], 0 offen lds               // 000000012210: E0511000 8005004A
	s_add_u32 m0, 0x500, s48                                   // 000000012218: 807C30FF 00000500
	v_mfma_f32_16x16x32_fp8_fp8 v[12:15], a[202:203], a[18:19], v[12:15]// 000000012220: D3F3000C 1C3225CA
	v_mfma_f32_16x16x32_fp8_fp8 v[12:15], a[204:205], a[20:21], v[12:15]// 000000012228: D3F3000C 1C3229CC
	buffer_load_dword v75, s[20:23], 0 offen lds               // 000000012230: E0511000 8005004B
	s_add_u32 m0, 0x600, s48                                   // 000000012238: 807C30FF 00000600
	v_mfma_f32_16x16x32_fp8_fp8 v[12:15], a[206:207], a[22:23], v[12:15]// 000000012240: D3F3000C 1C322DCE
	v_fma_f32 v100, v8, v4, v100                               // 000000012248: D1CB0064 05920908
	v_fma_f32 v101, v9, v4, v101                               // 000000012250: D1CB0065 05960909
	v_fma_f32 v102, v10, v4, v102                              // 000000012258: D1CB0066 059A090A
	v_fma_f32 v103, v11, v4, v103                              // 000000012260: D1CB0067 059E090B
	v_mul_f32_dpp v6, v25, v53 row_newbcast:0 row_mask:0xf bank_mask:0xf// 000000012268: 0A0C6AFA FF015019
	v_mfma_f32_16x16x32_fp8_fp8 v[8:11], a[192:193], a[24:25], 0// 000000012270: D3F30008 1A0231C0
	buffer_load_dword v76, s[20:23], 0 offen lds               // 000000012278: E0511000 8005004C
	s_add_u32 m0, 0x700, s48                                   // 000000012280: 807C30FF 00000700
	v_mfma_f32_16x16x32_fp8_fp8 v[8:11], a[194:195], a[26:27], v[8:11]// 000000012288: D3F30008 1C2235C2
	v_mfma_f32_16x16x32_fp8_fp8 v[8:11], a[196:197], a[28:29], v[8:11]// 000000012290: D3F30008 1C2239C4
	buffer_load_dword v77, s[20:23], 0 offen lds               // 000000012298: E0511000 8005004D
	s_add_u32 m0, 0x800, s48                                   // 0000000122A0: 807C30FF 00000800
	v_mfma_f32_16x16x32_fp8_fp8 v[8:11], a[198:199], a[30:31], v[8:11]// 0000000122A8: D3F30008 1C223DC6
	v_fma_f32 v140, v12, v4, v140                              // 0000000122B0: D1CB008C 0632090C
	v_fma_f32 v141, v13, v4, v141                              // 0000000122B8: D1CB008D 0636090D
	v_fma_f32 v142, v14, v4, v142                              // 0000000122C0: D1CB008E 063A090E
	v_fma_f32 v143, v15, v4, v143                              // 0000000122C8: D1CB008F 063E090F
	v_mfma_f32_16x16x32_fp8_fp8 v[12:15], a[200:201], a[24:25], 0// 0000000122D0: D3F3000C 1A0231C8
	buffer_load_dword v78, s[20:23], 0 offen lds               // 0000000122D8: E0511000 8005004E
	s_add_u32 m0, 0x900, s48                                   // 0000000122E0: 807C30FF 00000900
	v_mfma_f32_16x16x32_fp8_fp8 v[12:15], a[202:203], a[26:27], v[12:15]// 0000000122E8: D3F3000C 1C3235CA
	v_mfma_f32_16x16x32_fp8_fp8 v[12:15], a[204:205], a[28:29], v[12:15]// 0000000122F0: D3F3000C 1C3239CC
	buffer_load_dword v79, s[20:23], 0 offen lds               // 0000000122F8: E0511000 8005004F
	s_add_u32 m0, 0xa00, s48                                   // 000000012300: 807C30FF 00000A00
	v_mfma_f32_16x16x32_fp8_fp8 v[12:15], a[206:207], a[30:31], v[12:15]// 000000012308: D3F3000C 1C323DCE
	v_fma_f32 v104, v8, v6, v104                               // 000000012310: D1CB0068 05A20D08
	v_fma_f32 v105, v9, v6, v105                               // 000000012318: D1CB0069 05A60D09
	v_fma_f32 v106, v10, v6, v106                              // 000000012320: D1CB006A 05AA0D0A
	v_fma_f32 v107, v11, v6, v107                              // 000000012328: D1CB006B 05AE0D0B
	v_mul_f32_dpp v4, v25, v54 row_newbcast:0 row_mask:0xf bank_mask:0xf// 000000012330: 0A086CFA FF015019
	v_mfma_f32_16x16x32_fp8_fp8 v[8:11], a[192:193], a[32:33], 0// 000000012338: D3F30008 1A0241C0
	buffer_load_dword v80, s[20:23], 0 offen lds               // 000000012340: E0511000 80050050
	s_add_u32 m0, 0xb00, s48                                   // 000000012348: 807C30FF 00000B00
	v_mfma_f32_16x16x32_fp8_fp8 v[8:11], a[194:195], a[34:35], v[8:11]// 000000012350: D3F30008 1C2245C2
	v_mfma_f32_16x16x32_fp8_fp8 v[8:11], a[196:197], a[36:37], v[8:11]// 000000012358: D3F30008 1C2249C4
	buffer_load_dword v81, s[20:23], 0 offen lds               // 000000012360: E0511000 80050051
	s_add_u32 m0, 0xc00, s48                                   // 000000012368: 807C30FF 00000C00
	v_mfma_f32_16x16x32_fp8_fp8 v[8:11], a[198:199], a[38:39], v[8:11]// 000000012370: D3F30008 1C224DC6
	v_fma_f32 v144, v12, v6, v144                              // 000000012378: D1CB0090 06420D0C
	v_fma_f32 v145, v13, v6, v145                              // 000000012380: D1CB0091 06460D0D
	v_fma_f32 v146, v14, v6, v146                              // 000000012388: D1CB0092 064A0D0E
	v_fma_f32 v147, v15, v6, v147                              // 000000012390: D1CB0093 064E0D0F
	v_mfma_f32_16x16x32_fp8_fp8 v[12:15], a[200:201], a[32:33], 0// 000000012398: D3F3000C 1A0241C8
	buffer_load_dword v82, s[20:23], 0 offen lds               // 0000000123A0: E0511000 80050052
	s_add_u32 m0, 0xd00, s48                                   // 0000000123A8: 807C30FF 00000D00
	v_mfma_f32_16x16x32_fp8_fp8 v[12:15], a[202:203], a[34:35], v[12:15]// 0000000123B0: D3F3000C 1C3245CA
	v_mfma_f32_16x16x32_fp8_fp8 v[12:15], a[204:205], a[36:37], v[12:15]// 0000000123B8: D3F3000C 1C3249CC
	buffer_load_dword v83, s[20:23], 0 offen lds               // 0000000123C0: E0511000 80050053
	s_add_u32 m0, 0xe00, s48                                   // 0000000123C8: 807C30FF 00000E00
	v_mfma_f32_16x16x32_fp8_fp8 v[12:15], a[206:207], a[38:39], v[12:15]// 0000000123D0: D3F3000C 1C324DCE
	v_fma_f32 v108, v8, v4, v108                               // 0000000123D8: D1CB006C 05B20908
	v_fma_f32 v109, v9, v4, v109                               // 0000000123E0: D1CB006D 05B60909
	v_fma_f32 v110, v10, v4, v110                              // 0000000123E8: D1CB006E 05BA090A
	v_fma_f32 v111, v11, v4, v111                              // 0000000123F0: D1CB006F 05BE090B
	v_mul_f32_dpp v6, v25, v55 row_newbcast:0 row_mask:0xf bank_mask:0xf// 0000000123F8: 0A0C6EFA FF015019
	v_mfma_f32_16x16x32_fp8_fp8 v[8:11], a[192:193], a[40:41], 0// 000000012400: D3F30008 1A0251C0
	buffer_load_dword v84, s[20:23], 0 offen lds               // 000000012408: E0511000 80050054
	s_add_u32 m0, 0xf00, s48                                   // 000000012410: 807C30FF 00000F00
	v_mfma_f32_16x16x32_fp8_fp8 v[8:11], a[194:195], a[42:43], v[8:11]// 000000012418: D3F30008 1C2255C2
	v_mfma_f32_16x16x32_fp8_fp8 v[8:11], a[196:197], a[44:45], v[8:11]// 000000012420: D3F30008 1C2259C4
	buffer_load_dword v85, s[20:23], 0 offen lds               // 000000012428: E0511000 80050055
	s_add_u32 m0, 0x1000, s48                                  // 000000012430: 807C30FF 00001000
	v_mfma_f32_16x16x32_fp8_fp8 v[8:11], a[198:199], a[46:47], v[8:11]// 000000012438: D3F30008 1C225DC6
	v_fma_f32 v148, v12, v4, v148                              // 000000012440: D1CB0094 0652090C
	v_fma_f32 v149, v13, v4, v149                              // 000000012448: D1CB0095 0656090D
	v_fma_f32 v150, v14, v4, v150                              // 000000012450: D1CB0096 065A090E
	v_fma_f32 v151, v15, v4, v151                              // 000000012458: D1CB0097 065E090F
	v_mfma_f32_16x16x32_fp8_fp8 v[12:15], a[200:201], a[40:41], 0// 000000012460: D3F3000C 1A0251C8
	buffer_load_dword v86, s[20:23], 0 offen lds               // 000000012468: E0511000 80050056
	s_add_u32 m0, 0x1100, s48                                  // 000000012470: 807C30FF 00001100
	v_mfma_f32_16x16x32_fp8_fp8 v[12:15], a[202:203], a[42:43], v[12:15]// 000000012478: D3F3000C 1C3255CA
	v_mfma_f32_16x16x32_fp8_fp8 v[12:15], a[204:205], a[44:45], v[12:15]// 000000012480: D3F3000C 1C3259CC
	buffer_load_dword v87, s[20:23], 0 offen lds               // 000000012488: E0511000 80050057
	s_add_u32 m0, 0x1200, s48                                  // 000000012490: 807C30FF 00001200
	v_mfma_f32_16x16x32_fp8_fp8 v[12:15], a[206:207], a[46:47], v[12:15]// 000000012498: D3F3000C 1C325DCE
	v_fma_f32 v112, v8, v6, v112                               // 0000000124A0: D1CB0070 05C20D08
	v_fma_f32 v113, v9, v6, v113                               // 0000000124A8: D1CB0071 05C60D09
	v_fma_f32 v114, v10, v6, v114                              // 0000000124B0: D1CB0072 05CA0D0A
	v_fma_f32 v115, v11, v6, v115                              // 0000000124B8: D1CB0073 05CE0D0B
	v_mul_f32_dpp v4, v25, v56 row_newbcast:0 row_mask:0xf bank_mask:0xf// 0000000124C0: 0A0870FA FF015019
	v_mfma_f32_16x16x32_fp8_fp8 v[8:11], a[192:193], a[48:49], 0// 0000000124C8: D3F30008 1A0261C0
	buffer_load_dword v88, s[20:23], 0 offen lds               // 0000000124D0: E0511000 80050058
	s_add_u32 m0, 0x1300, s48                                  // 0000000124D8: 807C30FF 00001300
	v_mfma_f32_16x16x32_fp8_fp8 v[8:11], a[194:195], a[50:51], v[8:11]// 0000000124E0: D3F30008 1C2265C2
	v_mfma_f32_16x16x32_fp8_fp8 v[8:11], a[196:197], a[52:53], v[8:11]// 0000000124E8: D3F30008 1C2269C4
	buffer_load_dword v89, s[20:23], 0 offen lds               // 0000000124F0: E0511000 80050059
	s_add_u32 m0, 0, s49                                       // 0000000124F8: 807C3180
	v_mfma_f32_16x16x32_fp8_fp8 v[8:11], a[198:199], a[54:55], v[8:11]// 0000000124FC: D3F30008 1C226DC6
	v_fma_f32 v152, v12, v6, v152                              // 000000012504: D1CB0098 06620D0C
	v_fma_f32 v153, v13, v6, v153                              // 00000001250C: D1CB0099 06660D0D
	v_fma_f32 v154, v14, v6, v154                              // 000000012514: D1CB009A 066A0D0E
	v_fma_f32 v155, v15, v6, v155                              // 00000001251C: D1CB009B 066E0D0F
	v_mfma_f32_16x16x32_fp8_fp8 v[12:15], a[200:201], a[48:49], 0// 000000012524: D3F3000C 1A0261C8
	buffer_load_dword v40, v30, s[28:31], 0 offen              // 00000001252C: E0501000 8007281E
	v_mfma_f32_16x16x32_fp8_fp8 v[12:15], a[202:203], a[50:51], v[12:15]// 000000012534: D3F3000C 1C3265CA
	v_mfma_f32_16x16x32_fp8_fp8 v[12:15], a[204:205], a[52:53], v[12:15]// 00000001253C: D3F3000C 1C3269CC
	buffer_load_dword v41, v31, s[28:31], 0 offen              // 000000012544: E0501000 8007291F
	v_mfma_f32_16x16x32_fp8_fp8 v[12:15], a[206:207], a[54:55], v[12:15]// 00000001254C: D3F3000C 1C326DCE
	v_fma_f32 v116, v8, v4, v116                               // 000000012554: D1CB0074 05D20908
	v_fma_f32 v117, v9, v4, v117                               // 00000001255C: D1CB0075 05D60909
	v_fma_f32 v118, v10, v4, v118                              // 000000012564: D1CB0076 05DA090A
	v_fma_f32 v119, v11, v4, v119                              // 00000001256C: D1CB0077 05DE090B
	v_mul_f32_dpp v6, v25, v57 row_newbcast:0 row_mask:0xf bank_mask:0xf// 000000012574: 0A0C72FA FF015019
	v_mfma_f32_16x16x32_fp8_fp8 v[8:11], a[192:193], a[56:57], 0// 00000001257C: D3F30008 1A0271C0
	buffer_load_dword v42, v32, s[28:31], 0 offen              // 000000012584: E0501000 80072A20
	v_mfma_f32_16x16x32_fp8_fp8 v[8:11], a[194:195], a[58:59], v[8:11]// 00000001258C: D3F30008 1C2275C2
	v_mfma_f32_16x16x32_fp8_fp8 v[8:11], a[196:197], a[60:61], v[8:11]// 000000012594: D3F30008 1C2279C4
	buffer_load_dword v43, v33, s[28:31], 0 offen              // 00000001259C: E0501000 80072B21
	v_mfma_f32_16x16x32_fp8_fp8 v[8:11], a[198:199], a[62:63], v[8:11]// 0000000125A4: D3F30008 1C227DC6
	v_fma_f32 v156, v12, v4, v156                              // 0000000125AC: D1CB009C 0672090C
	v_fma_f32 v157, v13, v4, v157                              // 0000000125B4: D1CB009D 0676090D
	v_fma_f32 v158, v14, v4, v158                              // 0000000125BC: D1CB009E 067A090E
	v_fma_f32 v159, v15, v4, v159                              // 0000000125C4: D1CB009F 067E090F
	v_mfma_f32_16x16x32_fp8_fp8 v[12:15], a[200:201], a[56:57], 0// 0000000125CC: D3F3000C 1A0271C8
	buffer_load_dword v44, v34, s[28:31], 0 offen              // 0000000125D4: E0501000 80072C22
	v_mfma_f32_16x16x32_fp8_fp8 v[12:15], a[202:203], a[58:59], v[12:15]// 0000000125DC: D3F3000C 1C3275CA
	v_mfma_f32_16x16x32_fp8_fp8 v[12:15], a[204:205], a[60:61], v[12:15]// 0000000125E4: D3F3000C 1C3279CC
	buffer_load_dword v45, v35, s[28:31], 0 offen              // 0000000125EC: E0501000 80072D23
	v_mfma_f32_16x16x32_fp8_fp8 v[12:15], a[206:207], a[62:63], v[12:15]// 0000000125F4: D3F3000C 1C327DCE
	v_fma_f32 v120, v8, v6, v120                               // 0000000125FC: D1CB0078 05E20D08
	v_fma_f32 v121, v9, v6, v121                               // 000000012604: D1CB0079 05E60D09
	v_fma_f32 v122, v10, v6, v122                              // 00000001260C: D1CB007A 05EA0D0A
	v_fma_f32 v123, v11, v6, v123                              // 000000012614: D1CB007B 05EE0D0B
	v_mul_f32_dpp v4, v25, v58 row_newbcast:0 row_mask:0xf bank_mask:0xf// 00000001261C: 0A0874FA FF015019
	v_mfma_f32_16x16x32_fp8_fp8 v[8:11], a[192:193], a[64:65], 0// 000000012624: D3F30008 1A0281C0
	buffer_load_dword v46, v36, s[28:31], 0 offen              // 00000001262C: E0501000 80072E24
	v_mfma_f32_16x16x32_fp8_fp8 v[8:11], a[194:195], a[66:67], v[8:11]// 000000012634: D3F30008 1C2285C2
	v_mfma_f32_16x16x32_fp8_fp8 v[8:11], a[196:197], a[68:69], v[8:11]// 00000001263C: D3F30008 1C2289C4
	buffer_load_dword v47, v37, s[28:31], 0 offen              // 000000012644: E0501000 80072F25
	v_mfma_f32_16x16x32_fp8_fp8 v[8:11], a[198:199], a[70:71], v[8:11]// 00000001264C: D3F30008 1C228DC6
	v_fma_f32 v160, v12, v6, v160                              // 000000012654: D1CB00A0 06820D0C
	v_fma_f32 v161, v13, v6, v161                              // 00000001265C: D1CB00A1 06860D0D
	v_fma_f32 v162, v14, v6, v162                              // 000000012664: D1CB00A2 068A0D0E
	v_fma_f32 v163, v15, v6, v163                              // 00000001266C: D1CB00A3 068E0D0F
	v_mfma_f32_16x16x32_fp8_fp8 v[12:15], a[200:201], a[64:65], 0// 000000012674: D3F3000C 1A0281C8
	buffer_load_dword v48, v38, s[28:31], 0 offen              // 00000001267C: E0501000 80073026
	v_mfma_f32_16x16x32_fp8_fp8 v[12:15], a[202:203], a[66:67], v[12:15]// 000000012684: D3F3000C 1C3285CA
	v_mfma_f32_16x16x32_fp8_fp8 v[12:15], a[204:205], a[68:69], v[12:15]// 00000001268C: D3F3000C 1C3289CC
	buffer_load_dword v49, v39, s[28:31], 0 offen              // 000000012694: E0501000 80073127
	v_mfma_f32_16x16x32_fp8_fp8 v[12:15], a[206:207], a[70:71], v[12:15]// 00000001269C: D3F3000C 1C328DCE
	v_fma_f32 v124, v8, v4, v124                               // 0000000126A4: D1CB007C 05F20908
	v_fma_f32 v125, v9, v4, v125                               // 0000000126AC: D1CB007D 05F60909
	v_fma_f32 v126, v10, v4, v126                              // 0000000126B4: D1CB007E 05FA090A
	v_fma_f32 v127, v11, v4, v127                              // 0000000126BC: D1CB007F 05FE090B
	v_mul_f32_dpp v6, v25, v59 row_newbcast:0 row_mask:0xf bank_mask:0xf// 0000000126C4: 0A0C76FA FF015019
	v_mfma_f32_16x16x32_fp8_fp8 v[8:11], a[192:193], a[72:73], 0// 0000000126CC: D3F30008 1A0291C0
	v_mfma_f32_16x16x32_fp8_fp8 v[8:11], a[194:195], a[74:75], v[8:11]// 0000000126D4: D3F30008 1C2295C2
	v_mfma_f32_16x16x32_fp8_fp8 v[8:11], a[196:197], a[76:77], v[8:11]// 0000000126DC: D3F30008 1C2299C4
	v_mfma_f32_16x16x32_fp8_fp8 v[8:11], a[198:199], a[78:79], v[8:11]// 0000000126E4: D3F30008 1C229DC6
	v_fma_f32 v164, v12, v4, v164                              // 0000000126EC: D1CB00A4 0692090C
	v_fma_f32 v165, v13, v4, v165                              // 0000000126F4: D1CB00A5 0696090D
	v_fma_f32 v166, v14, v4, v166                              // 0000000126FC: D1CB00A6 069A090E
	v_fma_f32 v167, v15, v4, v167                              // 000000012704: D1CB00A7 069E090F
	v_mfma_f32_16x16x32_fp8_fp8 v[12:15], a[200:201], a[72:73], 0// 00000001270C: D3F3000C 1A0291C8
	v_mfma_f32_16x16x32_fp8_fp8 v[12:15], a[202:203], a[74:75], v[12:15]// 000000012714: D3F3000C 1C3295CA
	v_mfma_f32_16x16x32_fp8_fp8 v[12:15], a[204:205], a[76:77], v[12:15]// 00000001271C: D3F3000C 1C3299CC
	v_mfma_f32_16x16x32_fp8_fp8 v[12:15], a[206:207], a[78:79], v[12:15]// 000000012724: D3F3000C 1C329DCE
	v_fma_f32 v128, v8, v6, v128                               // 00000001272C: D1CB0080 06020D08
	v_fma_f32 v129, v9, v6, v129                               // 000000012734: D1CB0081 06060D09
	v_fma_f32 v130, v10, v6, v130                              // 00000001273C: D1CB0082 060A0D0A
	v_fma_f32 v131, v11, v6, v131                              // 000000012744: D1CB0083 060E0D0B
	v_fma_f32 v168, v12, v6, v168                              // 00000001274C: D1CB00A8 06A20D0C
	v_fma_f32 v169, v13, v6, v169                              // 000000012754: D1CB00A9 06A60D0D
	v_fma_f32 v170, v14, v6, v170                              // 00000001275C: D1CB00AA 06AA0D0E
	v_fma_f32 v171, v15, v6, v171                              // 000000012764: D1CB00AB 06AE0D0F
	s_waitcnt vmcnt(35)                                        // 00000001276C: BF8C8F73
	s_barrier                                                  // 000000012770: BF8A0000
	v_mul_f32_dpp v4, v28, v50 row_newbcast:0 row_mask:0xf bank_mask:0xf// 000000012774: 0A0864FA FF01501C
	v_mfma_f32_16x16x32_fp8_fp8 v[8:11], a[160:161], a[0:1], 0 // 00000001277C: D3F30008 1A0201A0
	buffer_load_dword v29, v23, s[32:35], 0 offen              // 000000012784: E0501000 80081D17
	buffer_load_dwordx4 a[192:195], v90, s[84:87], 0 offen     // 00000001278C: E05C1000 8095C05A
	v_mfma_f32_16x16x32_fp8_fp8 v[8:11], a[162:163], a[2:3], v[8:11]// 000000012794: D3F30008 1C2205A2
	v_mfma_f32_16x16x32_fp8_fp8 v[8:11], a[164:165], a[4:5], v[8:11]// 00000001279C: D3F30008 1C2209A4
	ds_read_b128 a[80:83], v2 offset:41216                     // 0000000127A4: DBFEA100 50000002
	ds_read_b128 a[84:87], v2 offset:41280                     // 0000000127AC: DBFEA140 54000002
	v_mfma_f32_16x16x32_fp8_fp8 v[8:11], a[166:167], a[6:7], v[8:11]// 0000000127B4: D3F30008 1C220DA6
	v_mfma_f32_16x16x32_fp8_fp8 v[12:15], a[168:169], a[0:1], 0// 0000000127BC: D3F3000C 1A0201A8
	buffer_load_dwordx4 a[196:199], v90, s[84:87], 0 offen offset:1024// 0000000127C4: E05C1400 8095C45A
	v_mfma_f32_16x16x32_fp8_fp8 v[12:15], a[170:171], a[2:3], v[12:15]// 0000000127CC: D3F3000C 1C3205AA
	v_mfma_f32_16x16x32_fp8_fp8 v[12:15], a[172:173], a[4:5], v[12:15]// 0000000127D4: D3F3000C 1C3209AC
	ds_read_b128 a[88:91], v2 offset:41728                     // 0000000127DC: DBFEA300 58000002
	ds_read_b128 a[92:95], v2 offset:41792                     // 0000000127E4: DBFEA340 5C000002
	v_mfma_f32_16x16x32_fp8_fp8 v[12:15], a[174:175], a[6:7], v[12:15]// 0000000127EC: D3F3000C 1C320DAE
	v_fma_f32 v172, v8, v4, v172                               // 0000000127F4: D1CB00AC 06B20908
	v_fma_f32 v173, v9, v4, v173                               // 0000000127FC: D1CB00AD 06B60909
	v_fma_f32 v174, v10, v4, v174                              // 000000012804: D1CB00AE 06BA090A
	v_fma_f32 v175, v11, v4, v175                              // 00000001280C: D1CB00AF 06BE090B
	v_mul_f32_dpp v6, v28, v51 row_newbcast:0 row_mask:0xf bank_mask:0xf// 000000012814: 0A0C66FA FF01501C
	v_mfma_f32_16x16x32_fp8_fp8 v[8:11], a[160:161], a[8:9], 0 // 00000001281C: D3F30008 1A0211A0
	buffer_load_dwordx4 a[200:203], v91, s[84:87], 0 offen     // 000000012824: E05C1000 8095C85B
	v_mfma_f32_16x16x32_fp8_fp8 v[8:11], a[162:163], a[10:11], v[8:11]// 00000001282C: D3F30008 1C2215A2
	v_mfma_f32_16x16x32_fp8_fp8 v[8:11], a[164:165], a[12:13], v[8:11]// 000000012834: D3F30008 1C2219A4
	ds_read_b128 a[96:99], v2 offset:42240                     // 00000001283C: DBFEA500 60000002
	ds_read_b128 a[100:103], v2 offset:42304                   // 000000012844: DBFEA540 64000002
	v_mfma_f32_16x16x32_fp8_fp8 v[8:11], a[166:167], a[14:15], v[8:11]// 00000001284C: D3F30008 1C221DA6
	v_fma_f32 v212, v12, v4, v212                              // 000000012854: D1CB00D4 0752090C
	v_fma_f32 v213, v13, v4, v213                              // 00000001285C: D1CB00D5 0756090D
	v_fma_f32 v214, v14, v4, v214                              // 000000012864: D1CB00D6 075A090E
	v_fma_f32 v215, v15, v4, v215                              // 00000001286C: D1CB00D7 075E090F
	v_mfma_f32_16x16x32_fp8_fp8 v[12:15], a[168:169], a[8:9], 0// 000000012874: D3F3000C 1A0211A8
	buffer_load_dwordx4 a[204:207], v91, s[84:87], 0 offen offset:1024// 00000001287C: E05C1400 8095CC5B
	v_mfma_f32_16x16x32_fp8_fp8 v[12:15], a[170:171], a[10:11], v[12:15]// 000000012884: D3F3000C 1C3215AA
	v_mfma_f32_16x16x32_fp8_fp8 v[12:15], a[172:173], a[12:13], v[12:15]// 00000001288C: D3F3000C 1C3219AC
	ds_read_b128 a[104:107], v2 offset:42752                   // 000000012894: DBFEA700 68000002
	ds_read_b128 a[108:111], v2 offset:42816                   // 00000001289C: DBFEA740 6C000002
	v_mfma_f32_16x16x32_fp8_fp8 v[12:15], a[174:175], a[14:15], v[12:15]// 0000000128A4: D3F3000C 1C321DAE
	v_fma_f32 v176, v8, v6, v176                               // 0000000128AC: D1CB00B0 06C20D08
	v_fma_f32 v177, v9, v6, v177                               // 0000000128B4: D1CB00B1 06C60D09
	v_fma_f32 v178, v10, v6, v178                              // 0000000128BC: D1CB00B2 06CA0D0A
	v_fma_f32 v179, v11, v6, v179                              // 0000000128C4: D1CB00B3 06CE0D0B
	v_mul_f32_dpp v4, v28, v52 row_newbcast:0 row_mask:0xf bank_mask:0xf// 0000000128CC: 0A0868FA FF01501C
	v_mfma_f32_16x16x32_fp8_fp8 v[8:11], a[160:161], a[16:17], 0// 0000000128D4: D3F30008 1A0221A0
	v_mfma_f32_16x16x32_fp8_fp8 v[8:11], a[162:163], a[18:19], v[8:11]// 0000000128DC: D3F30008 1C2225A2
	v_mfma_f32_16x16x32_fp8_fp8 v[8:11], a[164:165], a[20:21], v[8:11]// 0000000128E4: D3F30008 1C2229A4
	ds_read_b128 a[112:115], v2 offset:43264                   // 0000000128EC: DBFEA900 70000002
	ds_read_b128 a[116:119], v2 offset:43328                   // 0000000128F4: DBFEA940 74000002
	v_mfma_f32_16x16x32_fp8_fp8 v[8:11], a[166:167], a[22:23], v[8:11]// 0000000128FC: D3F30008 1C222DA6
	v_fma_f32 v216, v12, v6, v216                              // 000000012904: D1CB00D8 07620D0C
	v_fma_f32 v217, v13, v6, v217                              // 00000001290C: D1CB00D9 07660D0D
	v_fma_f32 v218, v14, v6, v218                              // 000000012914: D1CB00DA 076A0D0E
	v_fma_f32 v219, v15, v6, v219                              // 00000001291C: D1CB00DB 076E0D0F
	v_mfma_f32_16x16x32_fp8_fp8 v[12:15], a[168:169], a[16:17], 0// 000000012924: D3F3000C 1A0221A8
	v_mfma_f32_16x16x32_fp8_fp8 v[12:15], a[170:171], a[18:19], v[12:15]// 00000001292C: D3F3000C 1C3225AA
	v_mfma_f32_16x16x32_fp8_fp8 v[12:15], a[172:173], a[20:21], v[12:15]// 000000012934: D3F3000C 1C3229AC
	ds_read_b128 a[120:123], v2 offset:43776                   // 00000001293C: DBFEAB00 78000002
	ds_read_b128 a[124:127], v2 offset:43840                   // 000000012944: DBFEAB40 7C000002
	v_mfma_f32_16x16x32_fp8_fp8 v[12:15], a[174:175], a[22:23], v[12:15]// 00000001294C: D3F3000C 1C322DAE
	v_fma_f32 v180, v8, v4, v180                               // 000000012954: D1CB00B4 06D20908
	v_fma_f32 v181, v9, v4, v181                               // 00000001295C: D1CB00B5 06D60909
	v_fma_f32 v182, v10, v4, v182                              // 000000012964: D1CB00B6 06DA090A
	v_fma_f32 v183, v11, v4, v183                              // 00000001296C: D1CB00B7 06DE090B
	v_mul_f32_dpp v6, v28, v53 row_newbcast:0 row_mask:0xf bank_mask:0xf// 000000012974: 0A0C6AFA FF01501C
	v_mfma_f32_16x16x32_fp8_fp8 v[8:11], a[160:161], a[24:25], 0// 00000001297C: D3F30008 1A0231A0
	v_mfma_f32_16x16x32_fp8_fp8 v[8:11], a[162:163], a[26:27], v[8:11]// 000000012984: D3F30008 1C2235A2
	v_mfma_f32_16x16x32_fp8_fp8 v[8:11], a[164:165], a[28:29], v[8:11]// 00000001298C: D3F30008 1C2239A4
	ds_read_b128 a[128:131], v2 offset:44288                   // 000000012994: DBFEAD00 80000002
	ds_read_b128 a[132:135], v2 offset:44352                   // 00000001299C: DBFEAD40 84000002
	v_mfma_f32_16x16x32_fp8_fp8 v[8:11], a[166:167], a[30:31], v[8:11]// 0000000129A4: D3F30008 1C223DA6
	v_fma_f32 v220, v12, v4, v220                              // 0000000129AC: D1CB00DC 0772090C
	v_fma_f32 v221, v13, v4, v221                              // 0000000129B4: D1CB00DD 0776090D
	v_fma_f32 v222, v14, v4, v222                              // 0000000129BC: D1CB00DE 077A090E
	v_fma_f32 v223, v15, v4, v223                              // 0000000129C4: D1CB00DF 077E090F
	v_mfma_f32_16x16x32_fp8_fp8 v[12:15], a[168:169], a[24:25], 0// 0000000129CC: D3F3000C 1A0231A8
	v_mfma_f32_16x16x32_fp8_fp8 v[12:15], a[170:171], a[26:27], v[12:15]// 0000000129D4: D3F3000C 1C3235AA
	v_mfma_f32_16x16x32_fp8_fp8 v[12:15], a[172:173], a[28:29], v[12:15]// 0000000129DC: D3F3000C 1C3239AC
	ds_read_b128 a[136:139], v2 offset:44800                   // 0000000129E4: DBFEAF00 88000002
	ds_read_b128 a[140:143], v2 offset:44864                   // 0000000129EC: DBFEAF40 8C000002
	v_mfma_f32_16x16x32_fp8_fp8 v[12:15], a[174:175], a[30:31], v[12:15]// 0000000129F4: D3F3000C 1C323DAE
	v_fma_f32 v184, v8, v6, v184                               // 0000000129FC: D1CB00B8 06E20D08
	v_fma_f32 v185, v9, v6, v185                               // 000000012A04: D1CB00B9 06E60D09
	v_fma_f32 v186, v10, v6, v186                              // 000000012A0C: D1CB00BA 06EA0D0A
	v_fma_f32 v187, v11, v6, v187                              // 000000012A14: D1CB00BB 06EE0D0B
	v_mul_f32_dpp v4, v28, v54 row_newbcast:0 row_mask:0xf bank_mask:0xf// 000000012A1C: 0A086CFA FF01501C
	v_mfma_f32_16x16x32_fp8_fp8 v[8:11], a[160:161], a[32:33], 0// 000000012A24: D3F30008 1A0241A0
	v_mfma_f32_16x16x32_fp8_fp8 v[8:11], a[162:163], a[34:35], v[8:11]// 000000012A2C: D3F30008 1C2245A2
	v_mfma_f32_16x16x32_fp8_fp8 v[8:11], a[164:165], a[36:37], v[8:11]// 000000012A34: D3F30008 1C2249A4
	ds_read_b128 a[144:147], v2 offset:45312                   // 000000012A3C: DBFEB100 90000002
	ds_read_b128 a[148:151], v2 offset:45376                   // 000000012A44: DBFEB140 94000002
	v_mfma_f32_16x16x32_fp8_fp8 v[8:11], a[166:167], a[38:39], v[8:11]// 000000012A4C: D3F30008 1C224DA6
	v_fma_f32 v224, v12, v6, v224                              // 000000012A54: D1CB00E0 07820D0C
	v_fma_f32 v225, v13, v6, v225                              // 000000012A5C: D1CB00E1 07860D0D
	v_fma_f32 v226, v14, v6, v226                              // 000000012A64: D1CB00E2 078A0D0E
	v_fma_f32 v227, v15, v6, v227                              // 000000012A6C: D1CB00E3 078E0D0F
	v_mfma_f32_16x16x32_fp8_fp8 v[12:15], a[168:169], a[32:33], 0// 000000012A74: D3F3000C 1A0241A8
	v_mfma_f32_16x16x32_fp8_fp8 v[12:15], a[170:171], a[34:35], v[12:15]// 000000012A7C: D3F3000C 1C3245AA
	v_mfma_f32_16x16x32_fp8_fp8 v[12:15], a[172:173], a[36:37], v[12:15]// 000000012A84: D3F3000C 1C3249AC
	ds_read_b128 a[152:155], v2 offset:45824                   // 000000012A8C: DBFEB300 98000002
	ds_read_b128 a[156:159], v2 offset:45888                   // 000000012A94: DBFEB340 9C000002
	v_mfma_f32_16x16x32_fp8_fp8 v[12:15], a[174:175], a[38:39], v[12:15]// 000000012A9C: D3F3000C 1C324DAE
	v_fma_f32 v188, v8, v4, v188                               // 000000012AA4: D1CB00BC 06F20908
	v_fma_f32 v189, v9, v4, v189                               // 000000012AAC: D1CB00BD 06F60909
	v_fma_f32 v190, v10, v4, v190                              // 000000012AB4: D1CB00BE 06FA090A
	v_fma_f32 v191, v11, v4, v191                              // 000000012ABC: D1CB00BF 06FE090B
	v_mul_f32_dpp v6, v28, v55 row_newbcast:0 row_mask:0xf bank_mask:0xf// 000000012AC4: 0A0C6EFA FF01501C
	v_mfma_f32_16x16x32_fp8_fp8 v[8:11], a[160:161], a[40:41], 0// 000000012ACC: D3F30008 1A0251A0
	v_mfma_f32_16x16x32_fp8_fp8 v[8:11], a[162:163], a[42:43], v[8:11]// 000000012AD4: D3F30008 1C2255A2
	v_mfma_f32_16x16x32_fp8_fp8 v[8:11], a[164:165], a[44:45], v[8:11]// 000000012ADC: D3F30008 1C2259A4
	v_mfma_f32_16x16x32_fp8_fp8 v[8:11], a[166:167], a[46:47], v[8:11]// 000000012AE4: D3F30008 1C225DA6
	v_fma_f32 v228, v12, v4, v228                              // 000000012AEC: D1CB00E4 0792090C
	v_fma_f32 v229, v13, v4, v229                              // 000000012AF4: D1CB00E5 0796090D
	v_fma_f32 v230, v14, v4, v230                              // 000000012AFC: D1CB00E6 079A090E
	v_fma_f32 v231, v15, v4, v231                              // 000000012B04: D1CB00E7 079E090F
	v_mfma_f32_16x16x32_fp8_fp8 v[12:15], a[168:169], a[40:41], 0// 000000012B0C: D3F3000C 1A0251A8
	v_mfma_f32_16x16x32_fp8_fp8 v[12:15], a[170:171], a[42:43], v[12:15]// 000000012B14: D3F3000C 1C3255AA
	v_mfma_f32_16x16x32_fp8_fp8 v[12:15], a[172:173], a[44:45], v[12:15]// 000000012B1C: D3F3000C 1C3259AC
	v_mfma_f32_16x16x32_fp8_fp8 v[12:15], a[174:175], a[46:47], v[12:15]// 000000012B24: D3F3000C 1C325DAE
	v_fma_f32 v192, v8, v6, v192                               // 000000012B2C: D1CB00C0 07020D08
	v_fma_f32 v193, v9, v6, v193                               // 000000012B34: D1CB00C1 07060D09
	v_fma_f32 v194, v10, v6, v194                              // 000000012B3C: D1CB00C2 070A0D0A
	v_fma_f32 v195, v11, v6, v195                              // 000000012B44: D1CB00C3 070E0D0B
	v_mul_f32_dpp v4, v28, v56 row_newbcast:0 row_mask:0xf bank_mask:0xf// 000000012B4C: 0A0870FA FF01501C
	v_mfma_f32_16x16x32_fp8_fp8 v[8:11], a[160:161], a[48:49], 0// 000000012B54: D3F30008 1A0261A0
	v_mfma_f32_16x16x32_fp8_fp8 v[8:11], a[162:163], a[50:51], v[8:11]// 000000012B5C: D3F30008 1C2265A2
	v_mfma_f32_16x16x32_fp8_fp8 v[8:11], a[164:165], a[52:53], v[8:11]// 000000012B64: D3F30008 1C2269A4
	v_mfma_f32_16x16x32_fp8_fp8 v[8:11], a[166:167], a[54:55], v[8:11]// 000000012B6C: D3F30008 1C226DA6
	v_fma_f32 v232, v12, v6, v232                              // 000000012B74: D1CB00E8 07A20D0C
	v_fma_f32 v233, v13, v6, v233                              // 000000012B7C: D1CB00E9 07A60D0D
	v_fma_f32 v234, v14, v6, v234                              // 000000012B84: D1CB00EA 07AA0D0E
	v_fma_f32 v235, v15, v6, v235                              // 000000012B8C: D1CB00EB 07AE0D0F
	v_mfma_f32_16x16x32_fp8_fp8 v[12:15], a[168:169], a[48:49], 0// 000000012B94: D3F3000C 1A0261A8
	v_mfma_f32_16x16x32_fp8_fp8 v[12:15], a[170:171], a[50:51], v[12:15]// 000000012B9C: D3F3000C 1C3265AA
	v_mfma_f32_16x16x32_fp8_fp8 v[12:15], a[172:173], a[52:53], v[12:15]// 000000012BA4: D3F3000C 1C3269AC
	v_mfma_f32_16x16x32_fp8_fp8 v[12:15], a[174:175], a[54:55], v[12:15]// 000000012BAC: D3F3000C 1C326DAE
	v_fma_f32 v196, v8, v4, v196                               // 000000012BB4: D1CB00C4 07120908
	v_fma_f32 v197, v9, v4, v197                               // 000000012BBC: D1CB00C5 07160909
	v_fma_f32 v198, v10, v4, v198                              // 000000012BC4: D1CB00C6 071A090A
	v_fma_f32 v199, v11, v4, v199                              // 000000012BCC: D1CB00C7 071E090B
	v_mul_f32_dpp v6, v28, v57 row_newbcast:0 row_mask:0xf bank_mask:0xf// 000000012BD4: 0A0C72FA FF01501C
	v_mfma_f32_16x16x32_fp8_fp8 v[8:11], a[160:161], a[56:57], 0// 000000012BDC: D3F30008 1A0271A0
	v_mfma_f32_16x16x32_fp8_fp8 v[8:11], a[162:163], a[58:59], v[8:11]// 000000012BE4: D3F30008 1C2275A2
	v_mfma_f32_16x16x32_fp8_fp8 v[8:11], a[164:165], a[60:61], v[8:11]// 000000012BEC: D3F30008 1C2279A4
	v_mfma_f32_16x16x32_fp8_fp8 v[8:11], a[166:167], a[62:63], v[8:11]// 000000012BF4: D3F30008 1C227DA6
	v_fma_f32 v236, v12, v4, v236                              // 000000012BFC: D1CB00EC 07B2090C
	v_fma_f32 v237, v13, v4, v237                              // 000000012C04: D1CB00ED 07B6090D
	v_fma_f32 v238, v14, v4, v238                              // 000000012C0C: D1CB00EE 07BA090E
	v_fma_f32 v239, v15, v4, v239                              // 000000012C14: D1CB00EF 07BE090F
	v_mfma_f32_16x16x32_fp8_fp8 v[12:15], a[168:169], a[56:57], 0// 000000012C1C: D3F3000C 1A0271A8
	v_mfma_f32_16x16x32_fp8_fp8 v[12:15], a[170:171], a[58:59], v[12:15]// 000000012C24: D3F3000C 1C3275AA
	v_mfma_f32_16x16x32_fp8_fp8 v[12:15], a[172:173], a[60:61], v[12:15]// 000000012C2C: D3F3000C 1C3279AC
	v_mfma_f32_16x16x32_fp8_fp8 v[12:15], a[174:175], a[62:63], v[12:15]// 000000012C34: D3F3000C 1C327DAE
	v_fma_f32 v200, v8, v6, v200                               // 000000012C3C: D1CB00C8 07220D08
	v_fma_f32 v201, v9, v6, v201                               // 000000012C44: D1CB00C9 07260D09
	v_fma_f32 v202, v10, v6, v202                              // 000000012C4C: D1CB00CA 072A0D0A
	v_fma_f32 v203, v11, v6, v203                              // 000000012C54: D1CB00CB 072E0D0B
	v_mul_f32_dpp v4, v28, v58 row_newbcast:0 row_mask:0xf bank_mask:0xf// 000000012C5C: 0A0874FA FF01501C
	v_mfma_f32_16x16x32_fp8_fp8 v[8:11], a[160:161], a[64:65], 0// 000000012C64: D3F30008 1A0281A0
	v_mfma_f32_16x16x32_fp8_fp8 v[8:11], a[162:163], a[66:67], v[8:11]// 000000012C6C: D3F30008 1C2285A2
	v_mfma_f32_16x16x32_fp8_fp8 v[8:11], a[164:165], a[68:69], v[8:11]// 000000012C74: D3F30008 1C2289A4
	v_mfma_f32_16x16x32_fp8_fp8 v[8:11], a[166:167], a[70:71], v[8:11]// 000000012C7C: D3F30008 1C228DA6
	v_fma_f32 v240, v12, v6, v240                              // 000000012C84: D1CB00F0 07C20D0C
	v_fma_f32 v241, v13, v6, v241                              // 000000012C8C: D1CB00F1 07C60D0D
	v_fma_f32 v242, v14, v6, v242                              // 000000012C94: D1CB00F2 07CA0D0E
	v_fma_f32 v243, v15, v6, v243                              // 000000012C9C: D1CB00F3 07CE0D0F
	v_mfma_f32_16x16x32_fp8_fp8 v[12:15], a[168:169], a[64:65], 0// 000000012CA4: D3F3000C 1A0281A8
	v_mfma_f32_16x16x32_fp8_fp8 v[12:15], a[170:171], a[66:67], v[12:15]// 000000012CAC: D3F3000C 1C3285AA
	v_mfma_f32_16x16x32_fp8_fp8 v[12:15], a[172:173], a[68:69], v[12:15]// 000000012CB4: D3F3000C 1C3289AC
	v_mfma_f32_16x16x32_fp8_fp8 v[12:15], a[174:175], a[70:71], v[12:15]// 000000012CBC: D3F3000C 1C328DAE
	v_fma_f32 v204, v8, v4, v204                               // 000000012CC4: D1CB00CC 07320908
	v_fma_f32 v205, v9, v4, v205                               // 000000012CCC: D1CB00CD 07360909
	v_fma_f32 v206, v10, v4, v206                              // 000000012CD4: D1CB00CE 073A090A
	v_fma_f32 v207, v11, v4, v207                              // 000000012CDC: D1CB00CF 073E090B
	v_mul_f32_dpp v6, v28, v59 row_newbcast:0 row_mask:0xf bank_mask:0xf// 000000012CE4: 0A0C76FA FF01501C
	v_mfma_f32_16x16x32_fp8_fp8 v[8:11], a[160:161], a[72:73], 0// 000000012CEC: D3F30008 1A0291A0
	s_add_u32 s60, 0x180, s80                                  // 000000012CF4: 803C50FF 00000180
	s_cmp_lt_u32 s60, s81                                      // 000000012CFC: BF0A513C
	s_cselect_b32 s57, s57, 0                                  // 000000012D00: 85398039
	s_cselect_b32 s3, s3, 0                                    // 000000012D04: 85038003
	v_mfma_f32_16x16x32_fp8_fp8 v[8:11], a[162:163], a[74:75], v[8:11]// 000000012D08: D3F30008 1C2295A2
	s_add_u32 s60, 0x100, s80                                  // 000000012D10: 803C50FF 00000100
	s_cmp_lt_u32 s60, s81                                      // 000000012D18: BF0A513C
	s_cselect_b32 s58, s58, 0                                  // 000000012D1C: 853A803A
	v_mfma_f32_16x16x32_fp8_fp8 v[8:11], a[164:165], a[76:77], v[8:11]// 000000012D20: D3F30008 1C2299A4
	s_add_u32 s60, 0x100, s80                                  // 000000012D28: 803C50FF 00000100
	s_cmp_lt_u32 s60, s81                                      // 000000012D30: BF0A513C
	s_cselect_b32 s83, s83, 0                                  // 000000012D34: 85538053
	s_cselect_b32 s4, s4, 0                                    // 000000012D38: 85048004
	v_mfma_f32_16x16x32_fp8_fp8 v[8:11], a[166:167], a[78:79], v[8:11]// 000000012D3C: D3F30008 1C229DA6
	s_add_u32 s24, s58, s24                                    // 000000012D44: 8018183A
	s_addc_u32 s25, 0, s25                                     // 000000012D48: 82191980
	v_fma_f32 v244, v12, v4, v244                              // 000000012D4C: D1CB00F4 07D2090C
	v_fma_f32 v245, v13, v4, v245                              // 000000012D54: D1CB00F5 07D6090D
	v_fma_f32 v246, v14, v4, v246                              // 000000012D5C: D1CB00F6 07DA090E
	v_fma_f32 v247, v15, v4, v247                              // 000000012D64: D1CB00F7 07DE090F
	v_mfma_f32_16x16x32_fp8_fp8 v[12:15], a[168:169], a[72:73], 0// 000000012D6C: D3F3000C 1A0291A8
	s_add_u32 s20, s57, s20                                    // 000000012D74: 80141439
	s_addc_u32 s21, 0, s21                                     // 000000012D78: 82151580
	s_add_u32 s28, s3, s28                                     // 000000012D7C: 801C1C03
	s_addc_u32 s29, 0, s29                                     // 000000012D80: 821D1D80
	v_mfma_f32_16x16x32_fp8_fp8 v[12:15], a[170:171], a[74:75], v[12:15]// 000000012D84: D3F3000C 1C3295AA
	s_add_u32 s84, s83, s84                                    // 000000012D8C: 80545453
	s_addc_u32 s85, 0, s85                                     // 000000012D90: 82555580
	v_mfma_f32_16x16x32_fp8_fp8 v[12:15], a[172:173], a[76:77], v[12:15]// 000000012D94: D3F3000C 1C3299AC
	s_add_u32 s32, s4, s32                                     // 000000012D9C: 80202004
	s_addc_u32 s33, 0, s33                                     // 000000012DA0: 82212180
	v_mfma_f32_16x16x32_fp8_fp8 v[12:15], a[174:175], a[78:79], v[12:15]// 000000012DA4: D3F3000C 1C329DAE
	v_fma_f32 v208, v8, v6, v208                               // 000000012DAC: D1CB00D0 07420D08
	v_fma_f32 v209, v9, v6, v209                               // 000000012DB4: D1CB00D1 07460D09
	v_fma_f32 v210, v10, v6, v210                              // 000000012DBC: D1CB00D2 074A0D0A
	v_fma_f32 v211, v11, v6, v211                              // 000000012DC4: D1CB00D3 074E0D0B
	v_fma_f32 v248, v12, v6, v248                              // 000000012DCC: D1CB00F8 07E20D0C
	v_fma_f32 v249, v13, v6, v249                              // 000000012DD4: D1CB00F9 07E60D0D
	v_fma_f32 v250, v14, v6, v250                              // 000000012DDC: D1CB00FA 07EA0D0E
	v_fma_f32 v251, v15, v6, v251                              // 000000012DE4: D1CB00FB 07EE0D0F
	s_addk_i32 s80, 0x80                                       // 000000012DEC: B7500080
	s_cmp_lt_i32 s80, s81                                      // 000000012DF0: BF045150
	s_cbranch_scc0 label_4467                                  // 000000012DF4: BF840366
	s_waitcnt vmcnt(35) lgkmcnt(0)                             // 000000012DF8: BF8C8073
	v_mul_f32_dpp v4, v26, v60 row_newbcast:0 row_mask:0xf bank_mask:0xf// 000000012DFC: 0A0878FA FF01501A
	v_mfma_f32_16x16x32_fp8_fp8 v[8:11], a[176:177], a[80:81], 0// 000000012E04: D3F30008 1A02A1B0
	buffer_load_dword v24, v22, s[32:35], 0 offen              // 000000012E0C: E0501000 80081816
	buffer_load_dwordx4 a[160:163], v90, s[24:27], 0 offen     // 000000012E14: E05C1000 8086A05A
	v_mfma_f32_16x16x32_fp8_fp8 v[8:11], a[178:179], a[82:83], v[8:11]// 000000012E1C: D3F30008 1C22A5B2
	v_mfma_f32_16x16x32_fp8_fp8 v[8:11], a[180:181], a[84:85], v[8:11]// 000000012E24: D3F30008 1C22A9B4
	v_mfma_f32_16x16x32_fp8_fp8 v[8:11], a[182:183], a[86:87], v[8:11]// 000000012E2C: D3F30008 1C22ADB6
	v_mfma_f32_16x16x32_fp8_fp8 v[12:15], a[184:185], a[80:81], 0// 000000012E34: D3F3000C 1A02A1B8
	buffer_load_dwordx4 a[164:167], v90, s[24:27], 0 offen offset:1024// 000000012E3C: E05C1400 8086A45A
	v_mfma_f32_16x16x32_fp8_fp8 v[12:15], a[186:187], a[82:83], v[12:15]// 000000012E44: D3F3000C 1C32A5BA
	v_mfma_f32_16x16x32_fp8_fp8 v[12:15], a[188:189], a[84:85], v[12:15]// 000000012E4C: D3F3000C 1C32A9BC
	v_mfma_f32_16x16x32_fp8_fp8 v[12:15], a[190:191], a[86:87], v[12:15]// 000000012E54: D3F3000C 1C32ADBE
	v_fma_f32 v92, v8, v4, v92                                 // 000000012E5C: D1CB005C 05720908
	v_fma_f32 v93, v9, v4, v93                                 // 000000012E64: D1CB005D 05760909
	v_fma_f32 v94, v10, v4, v94                                // 000000012E6C: D1CB005E 057A090A
	v_fma_f32 v95, v11, v4, v95                                // 000000012E74: D1CB005F 057E090B
	v_mul_f32_dpp v6, v26, v61 row_newbcast:0 row_mask:0xf bank_mask:0xf// 000000012E7C: 0A0C7AFA FF01501A
	v_mfma_f32_16x16x32_fp8_fp8 v[8:11], a[176:177], a[88:89], 0// 000000012E84: D3F30008 1A02B1B0
	buffer_load_dwordx4 a[168:171], v91, s[24:27], 0 offen     // 000000012E8C: E05C1000 8086A85B
	v_mfma_f32_16x16x32_fp8_fp8 v[8:11], a[178:179], a[90:91], v[8:11]// 000000012E94: D3F30008 1C22B5B2
	v_mfma_f32_16x16x32_fp8_fp8 v[8:11], a[180:181], a[92:93], v[8:11]// 000000012E9C: D3F30008 1C22B9B4
	v_mfma_f32_16x16x32_fp8_fp8 v[8:11], a[182:183], a[94:95], v[8:11]// 000000012EA4: D3F30008 1C22BDB6
	v_fma_f32 v132, v12, v4, v132                              // 000000012EAC: D1CB0084 0612090C
	v_fma_f32 v133, v13, v4, v133                              // 000000012EB4: D1CB0085 0616090D
	v_fma_f32 v134, v14, v4, v134                              // 000000012EBC: D1CB0086 061A090E
	v_fma_f32 v135, v15, v4, v135                              // 000000012EC4: D1CB0087 061E090F
	v_mfma_f32_16x16x32_fp8_fp8 v[12:15], a[184:185], a[88:89], 0// 000000012ECC: D3F3000C 1A02B1B8
	buffer_load_dwordx4 a[172:175], v91, s[24:27], 0 offen offset:1024// 000000012ED4: E05C1400 8086AC5B
	buffer_load_dword v70, s[20:23], 0 offen lds               // 000000012EDC: E0511000 80050046
	s_add_u32 m0, 0x100, s49                                   // 000000012EE4: 807C31FF 00000100
	v_mfma_f32_16x16x32_fp8_fp8 v[12:15], a[186:187], a[90:91], v[12:15]// 000000012EEC: D3F3000C 1C32B5BA
	v_mfma_f32_16x16x32_fp8_fp8 v[12:15], a[188:189], a[92:93], v[12:15]// 000000012EF4: D3F3000C 1C32B9BC
	buffer_load_dword v71, s[20:23], 0 offen lds               // 000000012EFC: E0511000 80050047
	s_add_u32 m0, 0x200, s49                                   // 000000012F04: 807C31FF 00000200
	v_mfma_f32_16x16x32_fp8_fp8 v[12:15], a[190:191], a[94:95], v[12:15]// 000000012F0C: D3F3000C 1C32BDBE
	v_fma_f32 v96, v8, v6, v96                                 // 000000012F14: D1CB0060 05820D08
	v_fma_f32 v97, v9, v6, v97                                 // 000000012F1C: D1CB0061 05860D09
	v_fma_f32 v98, v10, v6, v98                                // 000000012F24: D1CB0062 058A0D0A
	v_fma_f32 v99, v11, v6, v99                                // 000000012F2C: D1CB0063 058E0D0B
	v_mul_f32_dpp v4, v26, v62 row_newbcast:0 row_mask:0xf bank_mask:0xf// 000000012F34: 0A087CFA FF01501A
	v_mfma_f32_16x16x32_fp8_fp8 v[8:11], a[176:177], a[96:97], 0// 000000012F3C: D3F30008 1A02C1B0
	buffer_load_dword v72, s[20:23], 0 offen lds               // 000000012F44: E0511000 80050048
	s_add_u32 m0, 0x300, s49                                   // 000000012F4C: 807C31FF 00000300
	v_mfma_f32_16x16x32_fp8_fp8 v[8:11], a[178:179], a[98:99], v[8:11]// 000000012F54: D3F30008 1C22C5B2
	v_mfma_f32_16x16x32_fp8_fp8 v[8:11], a[180:181], a[100:101], v[8:11]// 000000012F5C: D3F30008 1C22C9B4
	buffer_load_dword v73, s[20:23], 0 offen lds               // 000000012F64: E0511000 80050049
	s_add_u32 m0, 0x400, s49                                   // 000000012F6C: 807C31FF 00000400
	v_mfma_f32_16x16x32_fp8_fp8 v[8:11], a[182:183], a[102:103], v[8:11]// 000000012F74: D3F30008 1C22CDB6
	v_fma_f32 v136, v12, v6, v136                              // 000000012F7C: D1CB0088 06220D0C
	v_fma_f32 v137, v13, v6, v137                              // 000000012F84: D1CB0089 06260D0D
	v_fma_f32 v138, v14, v6, v138                              // 000000012F8C: D1CB008A 062A0D0E
	v_fma_f32 v139, v15, v6, v139                              // 000000012F94: D1CB008B 062E0D0F
	v_mfma_f32_16x16x32_fp8_fp8 v[12:15], a[184:185], a[96:97], 0// 000000012F9C: D3F3000C 1A02C1B8
	buffer_load_dword v74, s[20:23], 0 offen lds               // 000000012FA4: E0511000 8005004A
	s_add_u32 m0, 0x500, s49                                   // 000000012FAC: 807C31FF 00000500
	v_mfma_f32_16x16x32_fp8_fp8 v[12:15], a[186:187], a[98:99], v[12:15]// 000000012FB4: D3F3000C 1C32C5BA
	v_mfma_f32_16x16x32_fp8_fp8 v[12:15], a[188:189], a[100:101], v[12:15]// 000000012FBC: D3F3000C 1C32C9BC
	buffer_load_dword v75, s[20:23], 0 offen lds               // 000000012FC4: E0511000 8005004B
	s_add_u32 m0, 0x600, s49                                   // 000000012FCC: 807C31FF 00000600
	v_mfma_f32_16x16x32_fp8_fp8 v[12:15], a[190:191], a[102:103], v[12:15]// 000000012FD4: D3F3000C 1C32CDBE
	v_fma_f32 v100, v8, v4, v100                               // 000000012FDC: D1CB0064 05920908
	v_fma_f32 v101, v9, v4, v101                               // 000000012FE4: D1CB0065 05960909
	v_fma_f32 v102, v10, v4, v102                              // 000000012FEC: D1CB0066 059A090A
	v_fma_f32 v103, v11, v4, v103                              // 000000012FF4: D1CB0067 059E090B
	v_mul_f32_dpp v6, v26, v63 row_newbcast:0 row_mask:0xf bank_mask:0xf// 000000012FFC: 0A0C7EFA FF01501A
	v_mfma_f32_16x16x32_fp8_fp8 v[8:11], a[176:177], a[104:105], 0// 000000013004: D3F30008 1A02D1B0
	buffer_load_dword v76, s[20:23], 0 offen lds               // 00000001300C: E0511000 8005004C
	s_add_u32 m0, 0x700, s49                                   // 000000013014: 807C31FF 00000700
	v_mfma_f32_16x16x32_fp8_fp8 v[8:11], a[178:179], a[106:107], v[8:11]// 00000001301C: D3F30008 1C22D5B2
	v_mfma_f32_16x16x32_fp8_fp8 v[8:11], a[180:181], a[108:109], v[8:11]// 000000013024: D3F30008 1C22D9B4
	buffer_load_dword v77, s[20:23], 0 offen lds               // 00000001302C: E0511000 8005004D
	s_add_u32 m0, 0x800, s49                                   // 000000013034: 807C31FF 00000800
	v_mfma_f32_16x16x32_fp8_fp8 v[8:11], a[182:183], a[110:111], v[8:11]// 00000001303C: D3F30008 1C22DDB6
	v_fma_f32 v140, v12, v4, v140                              // 000000013044: D1CB008C 0632090C
	v_fma_f32 v141, v13, v4, v141                              // 00000001304C: D1CB008D 0636090D
	v_fma_f32 v142, v14, v4, v142                              // 000000013054: D1CB008E 063A090E
	v_fma_f32 v143, v15, v4, v143                              // 00000001305C: D1CB008F 063E090F
	v_mfma_f32_16x16x32_fp8_fp8 v[12:15], a[184:185], a[104:105], 0// 000000013064: D3F3000C 1A02D1B8
	buffer_load_dword v78, s[20:23], 0 offen lds               // 00000001306C: E0511000 8005004E
	s_add_u32 m0, 0x900, s49                                   // 000000013074: 807C31FF 00000900
	v_mfma_f32_16x16x32_fp8_fp8 v[12:15], a[186:187], a[106:107], v[12:15]// 00000001307C: D3F3000C 1C32D5BA
	v_mfma_f32_16x16x32_fp8_fp8 v[12:15], a[188:189], a[108:109], v[12:15]// 000000013084: D3F3000C 1C32D9BC
	buffer_load_dword v79, s[20:23], 0 offen lds               // 00000001308C: E0511000 8005004F
	s_add_u32 m0, 0xa00, s49                                   // 000000013094: 807C31FF 00000A00
	v_mfma_f32_16x16x32_fp8_fp8 v[12:15], a[190:191], a[110:111], v[12:15]// 00000001309C: D3F3000C 1C32DDBE
	v_fma_f32 v104, v8, v6, v104                               // 0000000130A4: D1CB0068 05A20D08
	v_fma_f32 v105, v9, v6, v105                               // 0000000130AC: D1CB0069 05A60D09
	v_fma_f32 v106, v10, v6, v106                              // 0000000130B4: D1CB006A 05AA0D0A
	v_fma_f32 v107, v11, v6, v107                              // 0000000130BC: D1CB006B 05AE0D0B
	v_mul_f32_dpp v4, v26, v64 row_newbcast:0 row_mask:0xf bank_mask:0xf// 0000000130C4: 0A0880FA FF01501A
	v_mfma_f32_16x16x32_fp8_fp8 v[8:11], a[176:177], a[112:113], 0// 0000000130CC: D3F30008 1A02E1B0
	buffer_load_dword v80, s[20:23], 0 offen lds               // 0000000130D4: E0511000 80050050
	s_add_u32 m0, 0xb00, s49                                   // 0000000130DC: 807C31FF 00000B00
	v_mfma_f32_16x16x32_fp8_fp8 v[8:11], a[178:179], a[114:115], v[8:11]// 0000000130E4: D3F30008 1C22E5B2
	v_mfma_f32_16x16x32_fp8_fp8 v[8:11], a[180:181], a[116:117], v[8:11]// 0000000130EC: D3F30008 1C22E9B4
	buffer_load_dword v81, s[20:23], 0 offen lds               // 0000000130F4: E0511000 80050051
	s_add_u32 m0, 0xc00, s49                                   // 0000000130FC: 807C31FF 00000C00
	v_mfma_f32_16x16x32_fp8_fp8 v[8:11], a[182:183], a[118:119], v[8:11]// 000000013104: D3F30008 1C22EDB6
	v_fma_f32 v144, v12, v6, v144                              // 00000001310C: D1CB0090 06420D0C
	v_fma_f32 v145, v13, v6, v145                              // 000000013114: D1CB0091 06460D0D
	v_fma_f32 v146, v14, v6, v146                              // 00000001311C: D1CB0092 064A0D0E
	v_fma_f32 v147, v15, v6, v147                              // 000000013124: D1CB0093 064E0D0F
	v_mfma_f32_16x16x32_fp8_fp8 v[12:15], a[184:185], a[112:113], 0// 00000001312C: D3F3000C 1A02E1B8
	buffer_load_dword v82, s[20:23], 0 offen lds               // 000000013134: E0511000 80050052
	s_add_u32 m0, 0xd00, s49                                   // 00000001313C: 807C31FF 00000D00
	v_mfma_f32_16x16x32_fp8_fp8 v[12:15], a[186:187], a[114:115], v[12:15]// 000000013144: D3F3000C 1C32E5BA
	v_mfma_f32_16x16x32_fp8_fp8 v[12:15], a[188:189], a[116:117], v[12:15]// 00000001314C: D3F3000C 1C32E9BC
	buffer_load_dword v83, s[20:23], 0 offen lds               // 000000013154: E0511000 80050053
	s_add_u32 m0, 0xe00, s49                                   // 00000001315C: 807C31FF 00000E00
	v_mfma_f32_16x16x32_fp8_fp8 v[12:15], a[190:191], a[118:119], v[12:15]// 000000013164: D3F3000C 1C32EDBE
	v_fma_f32 v108, v8, v4, v108                               // 00000001316C: D1CB006C 05B20908
	v_fma_f32 v109, v9, v4, v109                               // 000000013174: D1CB006D 05B60909
	v_fma_f32 v110, v10, v4, v110                              // 00000001317C: D1CB006E 05BA090A
	v_fma_f32 v111, v11, v4, v111                              // 000000013184: D1CB006F 05BE090B
	v_mul_f32_dpp v6, v26, v65 row_newbcast:0 row_mask:0xf bank_mask:0xf// 00000001318C: 0A0C82FA FF01501A
	v_mfma_f32_16x16x32_fp8_fp8 v[8:11], a[176:177], a[120:121], 0// 000000013194: D3F30008 1A02F1B0
	buffer_load_dword v84, s[20:23], 0 offen lds               // 00000001319C: E0511000 80050054
	s_add_u32 m0, 0xf00, s49                                   // 0000000131A4: 807C31FF 00000F00
	v_mfma_f32_16x16x32_fp8_fp8 v[8:11], a[178:179], a[122:123], v[8:11]// 0000000131AC: D3F30008 1C22F5B2
	v_mfma_f32_16x16x32_fp8_fp8 v[8:11], a[180:181], a[124:125], v[8:11]// 0000000131B4: D3F30008 1C22F9B4
	buffer_load_dword v85, s[20:23], 0 offen lds               // 0000000131BC: E0511000 80050055
	s_add_u32 m0, 0x1000, s49                                  // 0000000131C4: 807C31FF 00001000
	v_mfma_f32_16x16x32_fp8_fp8 v[8:11], a[182:183], a[126:127], v[8:11]// 0000000131CC: D3F30008 1C22FDB6
	v_fma_f32 v148, v12, v4, v148                              // 0000000131D4: D1CB0094 0652090C
	v_fma_f32 v149, v13, v4, v149                              // 0000000131DC: D1CB0095 0656090D
	v_fma_f32 v150, v14, v4, v150                              // 0000000131E4: D1CB0096 065A090E
	v_fma_f32 v151, v15, v4, v151                              // 0000000131EC: D1CB0097 065E090F
	v_mfma_f32_16x16x32_fp8_fp8 v[12:15], a[184:185], a[120:121], 0// 0000000131F4: D3F3000C 1A02F1B8
	buffer_load_dword v86, s[20:23], 0 offen lds               // 0000000131FC: E0511000 80050056
	s_add_u32 m0, 0x1100, s49                                  // 000000013204: 807C31FF 00001100
	v_mfma_f32_16x16x32_fp8_fp8 v[12:15], a[186:187], a[122:123], v[12:15]// 00000001320C: D3F3000C 1C32F5BA
	v_mfma_f32_16x16x32_fp8_fp8 v[12:15], a[188:189], a[124:125], v[12:15]// 000000013214: D3F3000C 1C32F9BC
	buffer_load_dword v87, s[20:23], 0 offen lds               // 00000001321C: E0511000 80050057
	s_add_u32 m0, 0x1200, s49                                  // 000000013224: 807C31FF 00001200
	v_mfma_f32_16x16x32_fp8_fp8 v[12:15], a[190:191], a[126:127], v[12:15]// 00000001322C: D3F3000C 1C32FDBE
	v_fma_f32 v112, v8, v6, v112                               // 000000013234: D1CB0070 05C20D08
	v_fma_f32 v113, v9, v6, v113                               // 00000001323C: D1CB0071 05C60D09
	v_fma_f32 v114, v10, v6, v114                              // 000000013244: D1CB0072 05CA0D0A
	v_fma_f32 v115, v11, v6, v115                              // 00000001324C: D1CB0073 05CE0D0B
	v_mul_f32_dpp v4, v26, v66 row_newbcast:0 row_mask:0xf bank_mask:0xf// 000000013254: 0A0884FA FF01501A
	v_mfma_f32_16x16x32_fp8_fp8 v[8:11], a[176:177], a[128:129], 0// 00000001325C: D3F30008 1A0301B0
	buffer_load_dword v88, s[20:23], 0 offen lds               // 000000013264: E0511000 80050058
	s_add_u32 m0, 0x1300, s49                                  // 00000001326C: 807C31FF 00001300
	v_mfma_f32_16x16x32_fp8_fp8 v[8:11], a[178:179], a[130:131], v[8:11]// 000000013274: D3F30008 1C2305B2
	v_mfma_f32_16x16x32_fp8_fp8 v[8:11], a[180:181], a[132:133], v[8:11]// 00000001327C: D3F30008 1C2309B4
	buffer_load_dword v89, s[20:23], 0 offen lds               // 000000013284: E0511000 80050059
	s_add_u32 m0, 0, s50                                       // 00000001328C: 807C3280
	v_mfma_f32_16x16x32_fp8_fp8 v[8:11], a[182:183], a[134:135], v[8:11]// 000000013290: D3F30008 1C230DB6
	v_fma_f32 v152, v12, v6, v152                              // 000000013298: D1CB0098 06620D0C
	v_fma_f32 v153, v13, v6, v153                              // 0000000132A0: D1CB0099 06660D0D
	v_fma_f32 v154, v14, v6, v154                              // 0000000132A8: D1CB009A 066A0D0E
	v_fma_f32 v155, v15, v6, v155                              // 0000000132B0: D1CB009B 066E0D0F
	v_mfma_f32_16x16x32_fp8_fp8 v[12:15], a[184:185], a[128:129], 0// 0000000132B8: D3F3000C 1A0301B8
	buffer_load_dword v50, v30, s[28:31], 0 offen              // 0000000132C0: E0501000 8007321E
	v_mfma_f32_16x16x32_fp8_fp8 v[12:15], a[186:187], a[130:131], v[12:15]// 0000000132C8: D3F3000C 1C3305BA
	v_mfma_f32_16x16x32_fp8_fp8 v[12:15], a[188:189], a[132:133], v[12:15]// 0000000132D0: D3F3000C 1C3309BC
	buffer_load_dword v51, v31, s[28:31], 0 offen              // 0000000132D8: E0501000 8007331F
	v_mfma_f32_16x16x32_fp8_fp8 v[12:15], a[190:191], a[134:135], v[12:15]// 0000000132E0: D3F3000C 1C330DBE
	v_fma_f32 v116, v8, v4, v116                               // 0000000132E8: D1CB0074 05D20908
	v_fma_f32 v117, v9, v4, v117                               // 0000000132F0: D1CB0075 05D60909
	v_fma_f32 v118, v10, v4, v118                              // 0000000132F8: D1CB0076 05DA090A
	v_fma_f32 v119, v11, v4, v119                              // 000000013300: D1CB0077 05DE090B
	v_mul_f32_dpp v6, v26, v67 row_newbcast:0 row_mask:0xf bank_mask:0xf// 000000013308: 0A0C86FA FF01501A
	v_mfma_f32_16x16x32_fp8_fp8 v[8:11], a[176:177], a[136:137], 0// 000000013310: D3F30008 1A0311B0
	buffer_load_dword v52, v32, s[28:31], 0 offen              // 000000013318: E0501000 80073420
	v_mfma_f32_16x16x32_fp8_fp8 v[8:11], a[178:179], a[138:139], v[8:11]// 000000013320: D3F30008 1C2315B2
	v_mfma_f32_16x16x32_fp8_fp8 v[8:11], a[180:181], a[140:141], v[8:11]// 000000013328: D3F30008 1C2319B4
	buffer_load_dword v53, v33, s[28:31], 0 offen              // 000000013330: E0501000 80073521
	v_mfma_f32_16x16x32_fp8_fp8 v[8:11], a[182:183], a[142:143], v[8:11]// 000000013338: D3F30008 1C231DB6
	v_fma_f32 v156, v12, v4, v156                              // 000000013340: D1CB009C 0672090C
	v_fma_f32 v157, v13, v4, v157                              // 000000013348: D1CB009D 0676090D
	v_fma_f32 v158, v14, v4, v158                              // 000000013350: D1CB009E 067A090E
	v_fma_f32 v159, v15, v4, v159                              // 000000013358: D1CB009F 067E090F
	v_mfma_f32_16x16x32_fp8_fp8 v[12:15], a[184:185], a[136:137], 0// 000000013360: D3F3000C 1A0311B8
	buffer_load_dword v54, v34, s[28:31], 0 offen              // 000000013368: E0501000 80073622
	v_mfma_f32_16x16x32_fp8_fp8 v[12:15], a[186:187], a[138:139], v[12:15]// 000000013370: D3F3000C 1C3315BA
	v_mfma_f32_16x16x32_fp8_fp8 v[12:15], a[188:189], a[140:141], v[12:15]// 000000013378: D3F3000C 1C3319BC
	buffer_load_dword v55, v35, s[28:31], 0 offen              // 000000013380: E0501000 80073723
	v_mfma_f32_16x16x32_fp8_fp8 v[12:15], a[190:191], a[142:143], v[12:15]// 000000013388: D3F3000C 1C331DBE
	v_fma_f32 v120, v8, v6, v120                               // 000000013390: D1CB0078 05E20D08
	v_fma_f32 v121, v9, v6, v121                               // 000000013398: D1CB0079 05E60D09
	v_fma_f32 v122, v10, v6, v122                              // 0000000133A0: D1CB007A 05EA0D0A
	v_fma_f32 v123, v11, v6, v123                              // 0000000133A8: D1CB007B 05EE0D0B
	v_mul_f32_dpp v4, v26, v68 row_newbcast:0 row_mask:0xf bank_mask:0xf// 0000000133B0: 0A0888FA FF01501A
	v_mfma_f32_16x16x32_fp8_fp8 v[8:11], a[176:177], a[144:145], 0// 0000000133B8: D3F30008 1A0321B0
	buffer_load_dword v56, v36, s[28:31], 0 offen              // 0000000133C0: E0501000 80073824
	v_mfma_f32_16x16x32_fp8_fp8 v[8:11], a[178:179], a[146:147], v[8:11]// 0000000133C8: D3F30008 1C2325B2
	v_mfma_f32_16x16x32_fp8_fp8 v[8:11], a[180:181], a[148:149], v[8:11]// 0000000133D0: D3F30008 1C2329B4
	buffer_load_dword v57, v37, s[28:31], 0 offen              // 0000000133D8: E0501000 80073925
	v_mfma_f32_16x16x32_fp8_fp8 v[8:11], a[182:183], a[150:151], v[8:11]// 0000000133E0: D3F30008 1C232DB6
	v_fma_f32 v160, v12, v6, v160                              // 0000000133E8: D1CB00A0 06820D0C
	v_fma_f32 v161, v13, v6, v161                              // 0000000133F0: D1CB00A1 06860D0D
	v_fma_f32 v162, v14, v6, v162                              // 0000000133F8: D1CB00A2 068A0D0E
	v_fma_f32 v163, v15, v6, v163                              // 000000013400: D1CB00A3 068E0D0F
	v_mfma_f32_16x16x32_fp8_fp8 v[12:15], a[184:185], a[144:145], 0// 000000013408: D3F3000C 1A0321B8
	buffer_load_dword v58, v38, s[28:31], 0 offen              // 000000013410: E0501000 80073A26
	v_mfma_f32_16x16x32_fp8_fp8 v[12:15], a[186:187], a[146:147], v[12:15]// 000000013418: D3F3000C 1C3325BA
	v_mfma_f32_16x16x32_fp8_fp8 v[12:15], a[188:189], a[148:149], v[12:15]// 000000013420: D3F3000C 1C3329BC
	buffer_load_dword v59, v39, s[28:31], 0 offen              // 000000013428: E0501000 80073B27
	v_mfma_f32_16x16x32_fp8_fp8 v[12:15], a[190:191], a[150:151], v[12:15]// 000000013430: D3F3000C 1C332DBE
	v_fma_f32 v124, v8, v4, v124                               // 000000013438: D1CB007C 05F20908
	v_fma_f32 v125, v9, v4, v125                               // 000000013440: D1CB007D 05F60909
	v_fma_f32 v126, v10, v4, v126                              // 000000013448: D1CB007E 05FA090A
	v_fma_f32 v127, v11, v4, v127                              // 000000013450: D1CB007F 05FE090B
	v_mul_f32_dpp v6, v26, v69 row_newbcast:0 row_mask:0xf bank_mask:0xf// 000000013458: 0A0C8AFA FF01501A
	v_mfma_f32_16x16x32_fp8_fp8 v[8:11], a[176:177], a[152:153], 0// 000000013460: D3F30008 1A0331B0
	v_mfma_f32_16x16x32_fp8_fp8 v[8:11], a[178:179], a[154:155], v[8:11]// 000000013468: D3F30008 1C2335B2
	v_mfma_f32_16x16x32_fp8_fp8 v[8:11], a[180:181], a[156:157], v[8:11]// 000000013470: D3F30008 1C2339B4
	v_mfma_f32_16x16x32_fp8_fp8 v[8:11], a[182:183], a[158:159], v[8:11]// 000000013478: D3F30008 1C233DB6
	v_fma_f32 v164, v12, v4, v164                              // 000000013480: D1CB00A4 0692090C
	v_fma_f32 v165, v13, v4, v165                              // 000000013488: D1CB00A5 0696090D
	v_fma_f32 v166, v14, v4, v166                              // 000000013490: D1CB00A6 069A090E
	v_fma_f32 v167, v15, v4, v167                              // 000000013498: D1CB00A7 069E090F
	v_mfma_f32_16x16x32_fp8_fp8 v[12:15], a[184:185], a[152:153], 0// 0000000134A0: D3F3000C 1A0331B8
	v_mfma_f32_16x16x32_fp8_fp8 v[12:15], a[186:187], a[154:155], v[12:15]// 0000000134A8: D3F3000C 1C3335BA
	v_mfma_f32_16x16x32_fp8_fp8 v[12:15], a[188:189], a[156:157], v[12:15]// 0000000134B0: D3F3000C 1C3339BC
	v_mfma_f32_16x16x32_fp8_fp8 v[12:15], a[190:191], a[158:159], v[12:15]// 0000000134B8: D3F3000C 1C333DBE
	v_fma_f32 v128, v8, v6, v128                               // 0000000134C0: D1CB0080 06020D08
	v_fma_f32 v129, v9, v6, v129                               // 0000000134C8: D1CB0081 06060D09
	v_fma_f32 v130, v10, v6, v130                              // 0000000134D0: D1CB0082 060A0D0A
	v_fma_f32 v131, v11, v6, v131                              // 0000000134D8: D1CB0083 060E0D0B
	v_fma_f32 v168, v12, v6, v168                              // 0000000134E0: D1CB00A8 06A20D0C
	v_fma_f32 v169, v13, v6, v169                              // 0000000134E8: D1CB00A9 06A60D0D
	v_fma_f32 v170, v14, v6, v170                              // 0000000134F0: D1CB00AA 06AA0D0E
	v_fma_f32 v171, v15, v6, v171                              // 0000000134F8: D1CB00AB 06AE0D0F
	s_waitcnt vmcnt(35)                                        // 000000013500: BF8C8F73
	s_barrier                                                  // 000000013504: BF8A0000
	v_mul_f32_dpp v4, v29, v60 row_newbcast:0 row_mask:0xf bank_mask:0xf// 000000013508: 0A0878FA FF01501D
	v_mfma_f32_16x16x32_fp8_fp8 v[8:11], a[192:193], a[80:81], 0// 000000013510: D3F30008 1A02A1C0
	buffer_load_dword v27, v23, s[32:35], 0 offen              // 000000013518: E0501000 80081B17
	buffer_load_dwordx4 a[176:179], v90, s[84:87], 0 offen     // 000000013520: E05C1000 8095B05A
	v_mfma_f32_16x16x32_fp8_fp8 v[8:11], a[194:195], a[82:83], v[8:11]// 000000013528: D3F30008 1C22A5C2
	v_mfma_f32_16x16x32_fp8_fp8 v[8:11], a[196:197], a[84:85], v[8:11]// 000000013530: D3F30008 1C22A9C4
	ds_read_b128 a[0:3], v2                                    // 000000013538: DBFE0000 00000002
	ds_read_b128 a[4:7], v2 offset:64                          // 000000013540: DBFE0040 04000002
	v_mfma_f32_16x16x32_fp8_fp8 v[8:11], a[198:199], a[86:87], v[8:11]// 000000013548: D3F30008 1C22ADC6
	v_mfma_f32_16x16x32_fp8_fp8 v[12:15], a[200:201], a[80:81], 0// 000000013550: D3F3000C 1A02A1C8
	buffer_load_dwordx4 a[180:183], v90, s[84:87], 0 offen offset:1024// 000000013558: E05C1400 8095B45A
	v_mfma_f32_16x16x32_fp8_fp8 v[12:15], a[202:203], a[82:83], v[12:15]// 000000013560: D3F3000C 1C32A5CA
	v_mfma_f32_16x16x32_fp8_fp8 v[12:15], a[204:205], a[84:85], v[12:15]// 000000013568: D3F3000C 1C32A9CC
	ds_read_b128 a[8:11], v2 offset:512                        // 000000013570: DBFE0200 08000002
	ds_read_b128 a[12:15], v2 offset:576                       // 000000013578: DBFE0240 0C000002
	v_mfma_f32_16x16x32_fp8_fp8 v[12:15], a[206:207], a[86:87], v[12:15]// 000000013580: D3F3000C 1C32ADCE
	v_fma_f32 v172, v8, v4, v172                               // 000000013588: D1CB00AC 06B20908
	v_fma_f32 v173, v9, v4, v173                               // 000000013590: D1CB00AD 06B60909
	v_fma_f32 v174, v10, v4, v174                              // 000000013598: D1CB00AE 06BA090A
	v_fma_f32 v175, v11, v4, v175                              // 0000000135A0: D1CB00AF 06BE090B
	v_mul_f32_dpp v6, v29, v61 row_newbcast:0 row_mask:0xf bank_mask:0xf// 0000000135A8: 0A0C7AFA FF01501D
	v_mfma_f32_16x16x32_fp8_fp8 v[8:11], a[192:193], a[88:89], 0// 0000000135B0: D3F30008 1A02B1C0
	buffer_load_dwordx4 a[184:187], v91, s[84:87], 0 offen     // 0000000135B8: E05C1000 8095B85B
	v_mfma_f32_16x16x32_fp8_fp8 v[8:11], a[194:195], a[90:91], v[8:11]// 0000000135C0: D3F30008 1C22B5C2
	v_mfma_f32_16x16x32_fp8_fp8 v[8:11], a[196:197], a[92:93], v[8:11]// 0000000135C8: D3F30008 1C22B9C4
	ds_read_b128 a[16:19], v2 offset:1024                      // 0000000135D0: DBFE0400 10000002
	ds_read_b128 a[20:23], v2 offset:1088                      // 0000000135D8: DBFE0440 14000002
	v_mfma_f32_16x16x32_fp8_fp8 v[8:11], a[198:199], a[94:95], v[8:11]// 0000000135E0: D3F30008 1C22BDC6
	v_fma_f32 v212, v12, v4, v212                              // 0000000135E8: D1CB00D4 0752090C
	v_fma_f32 v213, v13, v4, v213                              // 0000000135F0: D1CB00D5 0756090D
	v_fma_f32 v214, v14, v4, v214                              // 0000000135F8: D1CB00D6 075A090E
	v_fma_f32 v215, v15, v4, v215                              // 000000013600: D1CB00D7 075E090F
	v_mfma_f32_16x16x32_fp8_fp8 v[12:15], a[200:201], a[88:89], 0// 000000013608: D3F3000C 1A02B1C8
	buffer_load_dwordx4 a[188:191], v91, s[84:87], 0 offen offset:1024// 000000013610: E05C1400 8095BC5B
	v_mfma_f32_16x16x32_fp8_fp8 v[12:15], a[202:203], a[90:91], v[12:15]// 000000013618: D3F3000C 1C32B5CA
	v_mfma_f32_16x16x32_fp8_fp8 v[12:15], a[204:205], a[92:93], v[12:15]// 000000013620: D3F3000C 1C32B9CC
	ds_read_b128 a[24:27], v2 offset:1536                      // 000000013628: DBFE0600 18000002
	ds_read_b128 a[28:31], v2 offset:1600                      // 000000013630: DBFE0640 1C000002
	v_mfma_f32_16x16x32_fp8_fp8 v[12:15], a[206:207], a[94:95], v[12:15]// 000000013638: D3F3000C 1C32BDCE
	v_fma_f32 v176, v8, v6, v176                               // 000000013640: D1CB00B0 06C20D08
	v_fma_f32 v177, v9, v6, v177                               // 000000013648: D1CB00B1 06C60D09
	v_fma_f32 v178, v10, v6, v178                              // 000000013650: D1CB00B2 06CA0D0A
	v_fma_f32 v179, v11, v6, v179                              // 000000013658: D1CB00B3 06CE0D0B
	v_mul_f32_dpp v4, v29, v62 row_newbcast:0 row_mask:0xf bank_mask:0xf// 000000013660: 0A087CFA FF01501D
	v_mfma_f32_16x16x32_fp8_fp8 v[8:11], a[192:193], a[96:97], 0// 000000013668: D3F30008 1A02C1C0
	v_mfma_f32_16x16x32_fp8_fp8 v[8:11], a[194:195], a[98:99], v[8:11]// 000000013670: D3F30008 1C22C5C2
	v_mfma_f32_16x16x32_fp8_fp8 v[8:11], a[196:197], a[100:101], v[8:11]// 000000013678: D3F30008 1C22C9C4
	ds_read_b128 a[32:35], v2 offset:2048                      // 000000013680: DBFE0800 20000002
	ds_read_b128 a[36:39], v2 offset:2112                      // 000000013688: DBFE0840 24000002
	v_mfma_f32_16x16x32_fp8_fp8 v[8:11], a[198:199], a[102:103], v[8:11]// 000000013690: D3F30008 1C22CDC6
	v_fma_f32 v216, v12, v6, v216                              // 000000013698: D1CB00D8 07620D0C
	v_fma_f32 v217, v13, v6, v217                              // 0000000136A0: D1CB00D9 07660D0D
	v_fma_f32 v218, v14, v6, v218                              // 0000000136A8: D1CB00DA 076A0D0E
	v_fma_f32 v219, v15, v6, v219                              // 0000000136B0: D1CB00DB 076E0D0F
	v_mfma_f32_16x16x32_fp8_fp8 v[12:15], a[200:201], a[96:97], 0// 0000000136B8: D3F3000C 1A02C1C8
	v_mfma_f32_16x16x32_fp8_fp8 v[12:15], a[202:203], a[98:99], v[12:15]// 0000000136C0: D3F3000C 1C32C5CA
	v_mfma_f32_16x16x32_fp8_fp8 v[12:15], a[204:205], a[100:101], v[12:15]// 0000000136C8: D3F3000C 1C32C9CC
	ds_read_b128 a[40:43], v2 offset:2560                      // 0000000136D0: DBFE0A00 28000002
	ds_read_b128 a[44:47], v2 offset:2624                      // 0000000136D8: DBFE0A40 2C000002
	v_mfma_f32_16x16x32_fp8_fp8 v[12:15], a[206:207], a[102:103], v[12:15]// 0000000136E0: D3F3000C 1C32CDCE
	v_fma_f32 v180, v8, v4, v180                               // 0000000136E8: D1CB00B4 06D20908
	v_fma_f32 v181, v9, v4, v181                               // 0000000136F0: D1CB00B5 06D60909
	v_fma_f32 v182, v10, v4, v182                              // 0000000136F8: D1CB00B6 06DA090A
	v_fma_f32 v183, v11, v4, v183                              // 000000013700: D1CB00B7 06DE090B
	v_mul_f32_dpp v6, v29, v63 row_newbcast:0 row_mask:0xf bank_mask:0xf// 000000013708: 0A0C7EFA FF01501D
	v_mfma_f32_16x16x32_fp8_fp8 v[8:11], a[192:193], a[104:105], 0// 000000013710: D3F30008 1A02D1C0
	v_mfma_f32_16x16x32_fp8_fp8 v[8:11], a[194:195], a[106:107], v[8:11]// 000000013718: D3F30008 1C22D5C2
	v_mfma_f32_16x16x32_fp8_fp8 v[8:11], a[196:197], a[108:109], v[8:11]// 000000013720: D3F30008 1C22D9C4
	ds_read_b128 a[48:51], v2 offset:3072                      // 000000013728: DBFE0C00 30000002
	ds_read_b128 a[52:55], v2 offset:3136                      // 000000013730: DBFE0C40 34000002
	v_mfma_f32_16x16x32_fp8_fp8 v[8:11], a[198:199], a[110:111], v[8:11]// 000000013738: D3F30008 1C22DDC6
	v_fma_f32 v220, v12, v4, v220                              // 000000013740: D1CB00DC 0772090C
	v_fma_f32 v221, v13, v4, v221                              // 000000013748: D1CB00DD 0776090D
	v_fma_f32 v222, v14, v4, v222                              // 000000013750: D1CB00DE 077A090E
	v_fma_f32 v223, v15, v4, v223                              // 000000013758: D1CB00DF 077E090F
	v_mfma_f32_16x16x32_fp8_fp8 v[12:15], a[200:201], a[104:105], 0// 000000013760: D3F3000C 1A02D1C8
	v_mfma_f32_16x16x32_fp8_fp8 v[12:15], a[202:203], a[106:107], v[12:15]// 000000013768: D3F3000C 1C32D5CA
	v_mfma_f32_16x16x32_fp8_fp8 v[12:15], a[204:205], a[108:109], v[12:15]// 000000013770: D3F3000C 1C32D9CC
	ds_read_b128 a[56:59], v2 offset:3584                      // 000000013778: DBFE0E00 38000002
	ds_read_b128 a[60:63], v2 offset:3648                      // 000000013780: DBFE0E40 3C000002
	v_mfma_f32_16x16x32_fp8_fp8 v[12:15], a[206:207], a[110:111], v[12:15]// 000000013788: D3F3000C 1C32DDCE
	v_fma_f32 v184, v8, v6, v184                               // 000000013790: D1CB00B8 06E20D08
	v_fma_f32 v185, v9, v6, v185                               // 000000013798: D1CB00B9 06E60D09
	v_fma_f32 v186, v10, v6, v186                              // 0000000137A0: D1CB00BA 06EA0D0A
	v_fma_f32 v187, v11, v6, v187                              // 0000000137A8: D1CB00BB 06EE0D0B
	v_mul_f32_dpp v4, v29, v64 row_newbcast:0 row_mask:0xf bank_mask:0xf// 0000000137B0: 0A0880FA FF01501D
	v_mfma_f32_16x16x32_fp8_fp8 v[8:11], a[192:193], a[112:113], 0// 0000000137B8: D3F30008 1A02E1C0
	v_mfma_f32_16x16x32_fp8_fp8 v[8:11], a[194:195], a[114:115], v[8:11]// 0000000137C0: D3F30008 1C22E5C2
	v_mfma_f32_16x16x32_fp8_fp8 v[8:11], a[196:197], a[116:117], v[8:11]// 0000000137C8: D3F30008 1C22E9C4
	ds_read_b128 a[64:67], v2 offset:4096                      // 0000000137D0: DBFE1000 40000002
	ds_read_b128 a[68:71], v2 offset:4160                      // 0000000137D8: DBFE1040 44000002
	v_mfma_f32_16x16x32_fp8_fp8 v[8:11], a[198:199], a[118:119], v[8:11]// 0000000137E0: D3F30008 1C22EDC6
	v_fma_f32 v224, v12, v6, v224                              // 0000000137E8: D1CB00E0 07820D0C
	v_fma_f32 v225, v13, v6, v225                              // 0000000137F0: D1CB00E1 07860D0D
	v_fma_f32 v226, v14, v6, v226                              // 0000000137F8: D1CB00E2 078A0D0E
	v_fma_f32 v227, v15, v6, v227                              // 000000013800: D1CB00E3 078E0D0F
	v_mfma_f32_16x16x32_fp8_fp8 v[12:15], a[200:201], a[112:113], 0// 000000013808: D3F3000C 1A02E1C8
	v_mfma_f32_16x16x32_fp8_fp8 v[12:15], a[202:203], a[114:115], v[12:15]// 000000013810: D3F3000C 1C32E5CA
	v_mfma_f32_16x16x32_fp8_fp8 v[12:15], a[204:205], a[116:117], v[12:15]// 000000013818: D3F3000C 1C32E9CC
	ds_read_b128 a[72:75], v2 offset:4608                      // 000000013820: DBFE1200 48000002
	ds_read_b128 a[76:79], v2 offset:4672                      // 000000013828: DBFE1240 4C000002
	v_mfma_f32_16x16x32_fp8_fp8 v[12:15], a[206:207], a[118:119], v[12:15]// 000000013830: D3F3000C 1C32EDCE
	v_fma_f32 v188, v8, v4, v188                               // 000000013838: D1CB00BC 06F20908
	v_fma_f32 v189, v9, v4, v189                               // 000000013840: D1CB00BD 06F60909
	v_fma_f32 v190, v10, v4, v190                              // 000000013848: D1CB00BE 06FA090A
	v_fma_f32 v191, v11, v4, v191                              // 000000013850: D1CB00BF 06FE090B
	v_mul_f32_dpp v6, v29, v65 row_newbcast:0 row_mask:0xf bank_mask:0xf// 000000013858: 0A0C82FA FF01501D
	v_mfma_f32_16x16x32_fp8_fp8 v[8:11], a[192:193], a[120:121], 0// 000000013860: D3F30008 1A02F1C0
	v_mfma_f32_16x16x32_fp8_fp8 v[8:11], a[194:195], a[122:123], v[8:11]// 000000013868: D3F30008 1C22F5C2
	v_mfma_f32_16x16x32_fp8_fp8 v[8:11], a[196:197], a[124:125], v[8:11]// 000000013870: D3F30008 1C22F9C4
	v_mfma_f32_16x16x32_fp8_fp8 v[8:11], a[198:199], a[126:127], v[8:11]// 000000013878: D3F30008 1C22FDC6
	v_fma_f32 v228, v12, v4, v228                              // 000000013880: D1CB00E4 0792090C
	v_fma_f32 v229, v13, v4, v229                              // 000000013888: D1CB00E5 0796090D
	v_fma_f32 v230, v14, v4, v230                              // 000000013890: D1CB00E6 079A090E
	v_fma_f32 v231, v15, v4, v231                              // 000000013898: D1CB00E7 079E090F
	v_mfma_f32_16x16x32_fp8_fp8 v[12:15], a[200:201], a[120:121], 0// 0000000138A0: D3F3000C 1A02F1C8
	v_mfma_f32_16x16x32_fp8_fp8 v[12:15], a[202:203], a[122:123], v[12:15]// 0000000138A8: D3F3000C 1C32F5CA
	v_mfma_f32_16x16x32_fp8_fp8 v[12:15], a[204:205], a[124:125], v[12:15]// 0000000138B0: D3F3000C 1C32F9CC
	v_mfma_f32_16x16x32_fp8_fp8 v[12:15], a[206:207], a[126:127], v[12:15]// 0000000138B8: D3F3000C 1C32FDCE
	v_fma_f32 v192, v8, v6, v192                               // 0000000138C0: D1CB00C0 07020D08
	v_fma_f32 v193, v9, v6, v193                               // 0000000138C8: D1CB00C1 07060D09
	v_fma_f32 v194, v10, v6, v194                              // 0000000138D0: D1CB00C2 070A0D0A
	v_fma_f32 v195, v11, v6, v195                              // 0000000138D8: D1CB00C3 070E0D0B
	v_mul_f32_dpp v4, v29, v66 row_newbcast:0 row_mask:0xf bank_mask:0xf// 0000000138E0: 0A0884FA FF01501D
	v_mfma_f32_16x16x32_fp8_fp8 v[8:11], a[192:193], a[128:129], 0// 0000000138E8: D3F30008 1A0301C0
	v_mfma_f32_16x16x32_fp8_fp8 v[8:11], a[194:195], a[130:131], v[8:11]// 0000000138F0: D3F30008 1C2305C2
	v_mfma_f32_16x16x32_fp8_fp8 v[8:11], a[196:197], a[132:133], v[8:11]// 0000000138F8: D3F30008 1C2309C4
	v_mfma_f32_16x16x32_fp8_fp8 v[8:11], a[198:199], a[134:135], v[8:11]// 000000013900: D3F30008 1C230DC6
	v_fma_f32 v232, v12, v6, v232                              // 000000013908: D1CB00E8 07A20D0C
	v_fma_f32 v233, v13, v6, v233                              // 000000013910: D1CB00E9 07A60D0D
	v_fma_f32 v234, v14, v6, v234                              // 000000013918: D1CB00EA 07AA0D0E
	v_fma_f32 v235, v15, v6, v235                              // 000000013920: D1CB00EB 07AE0D0F
	v_mfma_f32_16x16x32_fp8_fp8 v[12:15], a[200:201], a[128:129], 0// 000000013928: D3F3000C 1A0301C8
	v_mfma_f32_16x16x32_fp8_fp8 v[12:15], a[202:203], a[130:131], v[12:15]// 000000013930: D3F3000C 1C3305CA
	v_mfma_f32_16x16x32_fp8_fp8 v[12:15], a[204:205], a[132:133], v[12:15]// 000000013938: D3F3000C 1C3309CC
	v_mfma_f32_16x16x32_fp8_fp8 v[12:15], a[206:207], a[134:135], v[12:15]// 000000013940: D3F3000C 1C330DCE
	v_fma_f32 v196, v8, v4, v196                               // 000000013948: D1CB00C4 07120908
	v_fma_f32 v197, v9, v4, v197                               // 000000013950: D1CB00C5 07160909
	v_fma_f32 v198, v10, v4, v198                              // 000000013958: D1CB00C6 071A090A
	v_fma_f32 v199, v11, v4, v199                              // 000000013960: D1CB00C7 071E090B
	v_mul_f32_dpp v6, v29, v67 row_newbcast:0 row_mask:0xf bank_mask:0xf// 000000013968: 0A0C86FA FF01501D
	v_mfma_f32_16x16x32_fp8_fp8 v[8:11], a[192:193], a[136:137], 0// 000000013970: D3F30008 1A0311C0
	v_mfma_f32_16x16x32_fp8_fp8 v[8:11], a[194:195], a[138:139], v[8:11]// 000000013978: D3F30008 1C2315C2
	v_mfma_f32_16x16x32_fp8_fp8 v[8:11], a[196:197], a[140:141], v[8:11]// 000000013980: D3F30008 1C2319C4
	v_mfma_f32_16x16x32_fp8_fp8 v[8:11], a[198:199], a[142:143], v[8:11]// 000000013988: D3F30008 1C231DC6
	v_fma_f32 v236, v12, v4, v236                              // 000000013990: D1CB00EC 07B2090C
	v_fma_f32 v237, v13, v4, v237                              // 000000013998: D1CB00ED 07B6090D
	v_fma_f32 v238, v14, v4, v238                              // 0000000139A0: D1CB00EE 07BA090E
	v_fma_f32 v239, v15, v4, v239                              // 0000000139A8: D1CB00EF 07BE090F
	v_mfma_f32_16x16x32_fp8_fp8 v[12:15], a[200:201], a[136:137], 0// 0000000139B0: D3F3000C 1A0311C8
	v_mfma_f32_16x16x32_fp8_fp8 v[12:15], a[202:203], a[138:139], v[12:15]// 0000000139B8: D3F3000C 1C3315CA
	v_mfma_f32_16x16x32_fp8_fp8 v[12:15], a[204:205], a[140:141], v[12:15]// 0000000139C0: D3F3000C 1C3319CC
	v_mfma_f32_16x16x32_fp8_fp8 v[12:15], a[206:207], a[142:143], v[12:15]// 0000000139C8: D3F3000C 1C331DCE
	v_fma_f32 v200, v8, v6, v200                               // 0000000139D0: D1CB00C8 07220D08
	v_fma_f32 v201, v9, v6, v201                               // 0000000139D8: D1CB00C9 07260D09
	v_fma_f32 v202, v10, v6, v202                              // 0000000139E0: D1CB00CA 072A0D0A
	v_fma_f32 v203, v11, v6, v203                              // 0000000139E8: D1CB00CB 072E0D0B
	v_mul_f32_dpp v4, v29, v68 row_newbcast:0 row_mask:0xf bank_mask:0xf// 0000000139F0: 0A0888FA FF01501D
	v_mfma_f32_16x16x32_fp8_fp8 v[8:11], a[192:193], a[144:145], 0// 0000000139F8: D3F30008 1A0321C0
	v_mfma_f32_16x16x32_fp8_fp8 v[8:11], a[194:195], a[146:147], v[8:11]// 000000013A00: D3F30008 1C2325C2
	v_mfma_f32_16x16x32_fp8_fp8 v[8:11], a[196:197], a[148:149], v[8:11]// 000000013A08: D3F30008 1C2329C4
	v_mfma_f32_16x16x32_fp8_fp8 v[8:11], a[198:199], a[150:151], v[8:11]// 000000013A10: D3F30008 1C232DC6
	v_fma_f32 v240, v12, v6, v240                              // 000000013A18: D1CB00F0 07C20D0C
	v_fma_f32 v241, v13, v6, v241                              // 000000013A20: D1CB00F1 07C60D0D
	v_fma_f32 v242, v14, v6, v242                              // 000000013A28: D1CB00F2 07CA0D0E
	v_fma_f32 v243, v15, v6, v243                              // 000000013A30: D1CB00F3 07CE0D0F
	v_mfma_f32_16x16x32_fp8_fp8 v[12:15], a[200:201], a[144:145], 0// 000000013A38: D3F3000C 1A0321C8
	v_mfma_f32_16x16x32_fp8_fp8 v[12:15], a[202:203], a[146:147], v[12:15]// 000000013A40: D3F3000C 1C3325CA
	v_mfma_f32_16x16x32_fp8_fp8 v[12:15], a[204:205], a[148:149], v[12:15]// 000000013A48: D3F3000C 1C3329CC
	v_mfma_f32_16x16x32_fp8_fp8 v[12:15], a[206:207], a[150:151], v[12:15]// 000000013A50: D3F3000C 1C332DCE
	v_fma_f32 v204, v8, v4, v204                               // 000000013A58: D1CB00CC 07320908
	v_fma_f32 v205, v9, v4, v205                               // 000000013A60: D1CB00CD 07360909
	v_fma_f32 v206, v10, v4, v206                              // 000000013A68: D1CB00CE 073A090A
	v_fma_f32 v207, v11, v4, v207                              // 000000013A70: D1CB00CF 073E090B
	v_mul_f32_dpp v6, v29, v69 row_newbcast:0 row_mask:0xf bank_mask:0xf// 000000013A78: 0A0C8AFA FF01501D
	v_mfma_f32_16x16x32_fp8_fp8 v[8:11], a[192:193], a[152:153], 0// 000000013A80: D3F30008 1A0331C0
	s_add_u32 s60, 0x180, s80                                  // 000000013A88: 803C50FF 00000180
	s_cmp_lt_u32 s60, s81                                      // 000000013A90: BF0A513C
	s_cselect_b32 s57, s57, 0                                  // 000000013A94: 85398039
	s_cselect_b32 s3, s3, 0                                    // 000000013A98: 85038003
	v_mfma_f32_16x16x32_fp8_fp8 v[8:11], a[194:195], a[154:155], v[8:11]// 000000013A9C: D3F30008 1C2335C2
	s_add_u32 s60, 0x100, s80                                  // 000000013AA4: 803C50FF 00000100
	s_cmp_lt_u32 s60, s81                                      // 000000013AAC: BF0A513C
	s_cselect_b32 s58, s58, 0                                  // 000000013AB0: 853A803A
	v_mfma_f32_16x16x32_fp8_fp8 v[8:11], a[196:197], a[156:157], v[8:11]// 000000013AB4: D3F30008 1C2339C4
	s_add_u32 s60, 0x100, s80                                  // 000000013ABC: 803C50FF 00000100
	s_cmp_lt_u32 s60, s81                                      // 000000013AC4: BF0A513C
	s_cselect_b32 s83, s83, 0                                  // 000000013AC8: 85538053
	s_cselect_b32 s4, s4, 0                                    // 000000013ACC: 85048004
	v_mfma_f32_16x16x32_fp8_fp8 v[8:11], a[198:199], a[158:159], v[8:11]// 000000013AD0: D3F30008 1C233DC6
	s_add_u32 s24, s58, s24                                    // 000000013AD8: 8018183A
	s_addc_u32 s25, 0, s25                                     // 000000013ADC: 82191980
	v_fma_f32 v244, v12, v4, v244                              // 000000013AE0: D1CB00F4 07D2090C
	v_fma_f32 v245, v13, v4, v245                              // 000000013AE8: D1CB00F5 07D6090D
	v_fma_f32 v246, v14, v4, v246                              // 000000013AF0: D1CB00F6 07DA090E
	v_fma_f32 v247, v15, v4, v247                              // 000000013AF8: D1CB00F7 07DE090F
	v_mfma_f32_16x16x32_fp8_fp8 v[12:15], a[200:201], a[152:153], 0// 000000013B00: D3F3000C 1A0331C8
	s_add_u32 s20, s57, s20                                    // 000000013B08: 80141439
	s_addc_u32 s21, 0, s21                                     // 000000013B0C: 82151580
	s_add_u32 s28, s3, s28                                     // 000000013B10: 801C1C03
	s_addc_u32 s29, 0, s29                                     // 000000013B14: 821D1D80
	v_mfma_f32_16x16x32_fp8_fp8 v[12:15], a[202:203], a[154:155], v[12:15]// 000000013B18: D3F3000C 1C3335CA
	s_add_u32 s84, s83, s84                                    // 000000013B20: 80545453
	s_addc_u32 s85, 0, s85                                     // 000000013B24: 82555580
	v_mfma_f32_16x16x32_fp8_fp8 v[12:15], a[204:205], a[156:157], v[12:15]// 000000013B28: D3F3000C 1C3339CC
	s_add_u32 s32, s4, s32                                     // 000000013B30: 80202004
	s_addc_u32 s33, 0, s33                                     // 000000013B34: 82212180
	v_mfma_f32_16x16x32_fp8_fp8 v[12:15], a[206:207], a[158:159], v[12:15]// 000000013B38: D3F3000C 1C333DCE
	v_fma_f32 v208, v8, v6, v208                               // 000000013B40: D1CB00D0 07420D08
	v_fma_f32 v209, v9, v6, v209                               // 000000013B48: D1CB00D1 07460D09
	v_fma_f32 v210, v10, v6, v210                              // 000000013B50: D1CB00D2 074A0D0A
	v_fma_f32 v211, v11, v6, v211                              // 000000013B58: D1CB00D3 074E0D0B
	v_fma_f32 v248, v12, v6, v248                              // 000000013B60: D1CB00F8 07E20D0C
	v_fma_f32 v249, v13, v6, v249                              // 000000013B68: D1CB00F9 07E60D0D
	v_fma_f32 v250, v14, v6, v250                              // 000000013B70: D1CB00FA 07EA0D0E
	v_fma_f32 v251, v15, v6, v251                              // 000000013B78: D1CB00FB 07EE0D0F
	s_addk_i32 s80, 0x80                                       // 000000013B80: B7500080
	s_cmp_lt_i32 s80, s81                                      // 000000013B84: BF045150
	s_cbranch_scc0 label_4467                                  // 000000013B88: BF840001
	s_branch label_3008                                        // 000000013B8C: BF82EBA1

0000000000013b90 <label_4467>:
	s_cmp_eq_u32 s88, 0                                        // 000000013B90: BF068058
	s_cbranch_scc0 label_51B6                                  // 000000013B94: BF840D4D
	s_cmp_eq_u32 s89, 0                                        // 000000013B98: BF068059
	s_cbranch_scc1 label_4790                                  // 000000013B9C: BF850325
	v_mov_b32_e32 v8, v1                                       // 000000013BA0: 7E100301
	v_mov_b32_e32 v9, v1                                       // 000000013BA4: 7E120301
	s_mov_b32 s60, s6                                          // 000000013BA8: BEBC0006
	s_mov_b32 s61, s6                                          // 000000013BAC: BEBD0006
	v_pk_mul_f32 v[4:5], v[92:93], v[92:93]                    // 000000013BB0: D3B14004 1802B95C
	v_pk_mul_f32 v[6:7], v[94:95], v[94:95]                    // 000000013BB8: D3B14006 1802BD5E
	v_pk_fma_f32 v[4:5], v[4:5], s[78:79], v[8:9]              // 000000013BC0: D3B04004 1C209D04
	v_pk_fma_f32 v[6:7], v[6:7], s[78:79], v[8:9]              // 000000013BC8: D3B04006 1C209D06
	v_pk_mul_f32 v[4:5], v[4:5], v[92:93]                      // 000000013BD0: D3B14004 1802B904
	v_pk_mul_f32 v[6:7], v[6:7], v[94:95]                      // 000000013BD8: D3B14006 1802BD06
	v_pk_mul_f32 v[4:5], v[4:5], s[60:61]                      // 000000013BE0: D3B14004 18007904
	v_pk_mul_f32 v[6:7], v[6:7], s[60:61]                      // 000000013BE8: D3B14006 18007906
	v_exp_f32_e32 v4, v4                                       // 000000013BF0: 7E084104
	v_exp_f32_e32 v5, v5                                       // 000000013BF4: 7E0A4105
	v_exp_f32_e32 v6, v6                                       // 000000013BF8: 7E0C4106
	v_exp_f32_e32 v7, v7                                       // 000000013BFC: 7E0E4107
	v_add_f32_e64 v4, v4, 1.0                                  // 000000013C00: D1010004 0001E504
	v_add_f32_e64 v5, v5, 1.0                                  // 000000013C08: D1010005 0001E505
	v_add_f32_e64 v6, v6, 1.0                                  // 000000013C10: D1010006 0001E506
	v_add_f32_e64 v7, v7, 1.0                                  // 000000013C18: D1010007 0001E507
	v_rcp_f32_e32 v4, v4                                       // 000000013C20: 7E084504
	v_rcp_f32_e32 v5, v5                                       // 000000013C24: 7E0A4505
	v_rcp_f32_e32 v6, v6                                       // 000000013C28: 7E0C4506
	v_rcp_f32_e32 v7, v7                                       // 000000013C2C: 7E0E4507
	v_mul_f32_e32 v92, v92, v4                                 // 000000013C30: 0AB8095C
	v_mul_f32_e32 v93, v93, v5                                 // 000000013C34: 0ABA0B5D
	v_mul_f32_e32 v94, v94, v6                                 // 000000013C38: 0ABC0D5E
	v_mul_f32_e32 v95, v95, v7                                 // 000000013C3C: 0ABE0F5F
	v_mul_f32_e32 v92, v92, v172                               // 000000013C40: 0AB9595C
	v_mul_f32_e32 v93, v93, v173                               // 000000013C44: 0ABB5B5D
	v_mul_f32_e32 v94, v94, v174                               // 000000013C48: 0ABD5D5E
	v_mul_f32_e32 v95, v95, v175                               // 000000013C4C: 0ABF5F5F
	v_pk_mul_f32 v[4:5], v[96:97], v[96:97]                    // 000000013C50: D3B14004 1802C160
	v_pk_mul_f32 v[6:7], v[98:99], v[98:99]                    // 000000013C58: D3B14006 1802C562
	v_pk_fma_f32 v[4:5], v[4:5], s[78:79], v[8:9]              // 000000013C60: D3B04004 1C209D04
	v_pk_fma_f32 v[6:7], v[6:7], s[78:79], v[8:9]              // 000000013C68: D3B04006 1C209D06
	v_pk_mul_f32 v[4:5], v[4:5], v[96:97]                      // 000000013C70: D3B14004 1802C104
	v_pk_mul_f32 v[6:7], v[6:7], v[98:99]                      // 000000013C78: D3B14006 1802C506
	v_pk_mul_f32 v[4:5], v[4:5], s[60:61]                      // 000000013C80: D3B14004 18007904
	v_pk_mul_f32 v[6:7], v[6:7], s[60:61]                      // 000000013C88: D3B14006 18007906
	v_exp_f32_e32 v4, v4                                       // 000000013C90: 7E084104
	v_exp_f32_e32 v5, v5                                       // 000000013C94: 7E0A4105
	v_exp_f32_e32 v6, v6                                       // 000000013C98: 7E0C4106
	v_exp_f32_e32 v7, v7                                       // 000000013C9C: 7E0E4107
	v_add_f32_e64 v4, v4, 1.0                                  // 000000013CA0: D1010004 0001E504
	v_add_f32_e64 v5, v5, 1.0                                  // 000000013CA8: D1010005 0001E505
	v_add_f32_e64 v6, v6, 1.0                                  // 000000013CB0: D1010006 0001E506
	v_add_f32_e64 v7, v7, 1.0                                  // 000000013CB8: D1010007 0001E507
	v_rcp_f32_e32 v4, v4                                       // 000000013CC0: 7E084504
	v_rcp_f32_e32 v5, v5                                       // 000000013CC4: 7E0A4505
	v_rcp_f32_e32 v6, v6                                       // 000000013CC8: 7E0C4506
	v_rcp_f32_e32 v7, v7                                       // 000000013CCC: 7E0E4507
	v_mul_f32_e32 v96, v96, v4                                 // 000000013CD0: 0AC00960
	v_mul_f32_e32 v97, v97, v5                                 // 000000013CD4: 0AC20B61
	v_mul_f32_e32 v98, v98, v6                                 // 000000013CD8: 0AC40D62
	v_mul_f32_e32 v99, v99, v7                                 // 000000013CDC: 0AC60F63
	v_mul_f32_e32 v96, v96, v176                               // 000000013CE0: 0AC16160
	v_mul_f32_e32 v97, v97, v177                               // 000000013CE4: 0AC36361
	v_mul_f32_e32 v98, v98, v178                               // 000000013CE8: 0AC56562
	v_mul_f32_e32 v99, v99, v179                               // 000000013CEC: 0AC76763
	v_pk_mul_f32 v[4:5], v[100:101], v[100:101]                // 000000013CF0: D3B14004 1802C964
	v_pk_mul_f32 v[6:7], v[102:103], v[102:103]                // 000000013CF8: D3B14006 1802CD66
	v_pk_fma_f32 v[4:5], v[4:5], s[78:79], v[8:9]              // 000000013D00: D3B04004 1C209D04
	v_pk_fma_f32 v[6:7], v[6:7], s[78:79], v[8:9]              // 000000013D08: D3B04006 1C209D06
	v_pk_mul_f32 v[4:5], v[4:5], v[100:101]                    // 000000013D10: D3B14004 1802C904
	v_pk_mul_f32 v[6:7], v[6:7], v[102:103]                    // 000000013D18: D3B14006 1802CD06
	v_pk_mul_f32 v[4:5], v[4:5], s[60:61]                      // 000000013D20: D3B14004 18007904
	v_pk_mul_f32 v[6:7], v[6:7], s[60:61]                      // 000000013D28: D3B14006 18007906
	v_exp_f32_e32 v4, v4                                       // 000000013D30: 7E084104
	v_exp_f32_e32 v5, v5                                       // 000000013D34: 7E0A4105
	v_exp_f32_e32 v6, v6                                       // 000000013D38: 7E0C4106
	v_exp_f32_e32 v7, v7                                       // 000000013D3C: 7E0E4107
	v_add_f32_e64 v4, v4, 1.0                                  // 000000013D40: D1010004 0001E504
	v_add_f32_e64 v5, v5, 1.0                                  // 000000013D48: D1010005 0001E505
	v_add_f32_e64 v6, v6, 1.0                                  // 000000013D50: D1010006 0001E506
	v_add_f32_e64 v7, v7, 1.0                                  // 000000013D58: D1010007 0001E507
	v_rcp_f32_e32 v4, v4                                       // 000000013D60: 7E084504
	v_rcp_f32_e32 v5, v5                                       // 000000013D64: 7E0A4505
	v_rcp_f32_e32 v6, v6                                       // 000000013D68: 7E0C4506
	v_rcp_f32_e32 v7, v7                                       // 000000013D6C: 7E0E4507
	v_mul_f32_e32 v100, v100, v4                               // 000000013D70: 0AC80964
	v_mul_f32_e32 v101, v101, v5                               // 000000013D74: 0ACA0B65
	v_mul_f32_e32 v102, v102, v6                               // 000000013D78: 0ACC0D66
	v_mul_f32_e32 v103, v103, v7                               // 000000013D7C: 0ACE0F67
	v_mul_f32_e32 v100, v100, v180                             // 000000013D80: 0AC96964
	v_mul_f32_e32 v101, v101, v181                             // 000000013D84: 0ACB6B65
	v_mul_f32_e32 v102, v102, v182                             // 000000013D88: 0ACD6D66
	v_mul_f32_e32 v103, v103, v183                             // 000000013D8C: 0ACF6F67
	v_pk_mul_f32 v[4:5], v[104:105], v[104:105]                // 000000013D90: D3B14004 1802D168
	v_pk_mul_f32 v[6:7], v[106:107], v[106:107]                // 000000013D98: D3B14006 1802D56A
	v_pk_fma_f32 v[4:5], v[4:5], s[78:79], v[8:9]              // 000000013DA0: D3B04004 1C209D04
	v_pk_fma_f32 v[6:7], v[6:7], s[78:79], v[8:9]              // 000000013DA8: D3B04006 1C209D06
	v_pk_mul_f32 v[4:5], v[4:5], v[104:105]                    // 000000013DB0: D3B14004 1802D104
	v_pk_mul_f32 v[6:7], v[6:7], v[106:107]                    // 000000013DB8: D3B14006 1802D506
	v_pk_mul_f32 v[4:5], v[4:5], s[60:61]                      // 000000013DC0: D3B14004 18007904
	v_pk_mul_f32 v[6:7], v[6:7], s[60:61]                      // 000000013DC8: D3B14006 18007906
	v_exp_f32_e32 v4, v4                                       // 000000013DD0: 7E084104
	v_exp_f32_e32 v5, v5                                       // 000000013DD4: 7E0A4105
	v_exp_f32_e32 v6, v6                                       // 000000013DD8: 7E0C4106
	v_exp_f32_e32 v7, v7                                       // 000000013DDC: 7E0E4107
	v_add_f32_e64 v4, v4, 1.0                                  // 000000013DE0: D1010004 0001E504
	v_add_f32_e64 v5, v5, 1.0                                  // 000000013DE8: D1010005 0001E505
	v_add_f32_e64 v6, v6, 1.0                                  // 000000013DF0: D1010006 0001E506
	v_add_f32_e64 v7, v7, 1.0                                  // 000000013DF8: D1010007 0001E507
	v_rcp_f32_e32 v4, v4                                       // 000000013E00: 7E084504
	v_rcp_f32_e32 v5, v5                                       // 000000013E04: 7E0A4505
	v_rcp_f32_e32 v6, v6                                       // 000000013E08: 7E0C4506
	v_rcp_f32_e32 v7, v7                                       // 000000013E0C: 7E0E4507
	v_mul_f32_e32 v104, v104, v4                               // 000000013E10: 0AD00968
	v_mul_f32_e32 v105, v105, v5                               // 000000013E14: 0AD20B69
	v_mul_f32_e32 v106, v106, v6                               // 000000013E18: 0AD40D6A
	v_mul_f32_e32 v107, v107, v7                               // 000000013E1C: 0AD60F6B
	v_mul_f32_e32 v104, v104, v184                             // 000000013E20: 0AD17168
	v_mul_f32_e32 v105, v105, v185                             // 000000013E24: 0AD37369
	v_mul_f32_e32 v106, v106, v186                             // 000000013E28: 0AD5756A
	v_mul_f32_e32 v107, v107, v187                             // 000000013E2C: 0AD7776B
	v_pk_mul_f32 v[4:5], v[108:109], v[108:109]                // 000000013E30: D3B14004 1802D96C
	v_pk_mul_f32 v[6:7], v[110:111], v[110:111]                // 000000013E38: D3B14006 1802DD6E
	v_pk_fma_f32 v[4:5], v[4:5], s[78:79], v[8:9]              // 000000013E40: D3B04004 1C209D04
	v_pk_fma_f32 v[6:7], v[6:7], s[78:79], v[8:9]              // 000000013E48: D3B04006 1C209D06
	v_pk_mul_f32 v[4:5], v[4:5], v[108:109]                    // 000000013E50: D3B14004 1802D904
	v_pk_mul_f32 v[6:7], v[6:7], v[110:111]                    // 000000013E58: D3B14006 1802DD06
	v_pk_mul_f32 v[4:5], v[4:5], s[60:61]                      // 000000013E60: D3B14004 18007904
	v_pk_mul_f32 v[6:7], v[6:7], s[60:61]                      // 000000013E68: D3B14006 18007906
	v_exp_f32_e32 v4, v4                                       // 000000013E70: 7E084104
	v_exp_f32_e32 v5, v5                                       // 000000013E74: 7E0A4105
	v_exp_f32_e32 v6, v6                                       // 000000013E78: 7E0C4106
	v_exp_f32_e32 v7, v7                                       // 000000013E7C: 7E0E4107
	v_add_f32_e64 v4, v4, 1.0                                  // 000000013E80: D1010004 0001E504
	v_add_f32_e64 v5, v5, 1.0                                  // 000000013E88: D1010005 0001E505
	v_add_f32_e64 v6, v6, 1.0                                  // 000000013E90: D1010006 0001E506
	v_add_f32_e64 v7, v7, 1.0                                  // 000000013E98: D1010007 0001E507
	v_rcp_f32_e32 v4, v4                                       // 000000013EA0: 7E084504
	v_rcp_f32_e32 v5, v5                                       // 000000013EA4: 7E0A4505
	v_rcp_f32_e32 v6, v6                                       // 000000013EA8: 7E0C4506
	v_rcp_f32_e32 v7, v7                                       // 000000013EAC: 7E0E4507
	v_mul_f32_e32 v108, v108, v4                               // 000000013EB0: 0AD8096C
	v_mul_f32_e32 v109, v109, v5                               // 000000013EB4: 0ADA0B6D
	v_mul_f32_e32 v110, v110, v6                               // 000000013EB8: 0ADC0D6E
	v_mul_f32_e32 v111, v111, v7                               // 000000013EBC: 0ADE0F6F
	v_mul_f32_e32 v108, v108, v188                             // 000000013EC0: 0AD9796C
	v_mul_f32_e32 v109, v109, v189                             // 000000013EC4: 0ADB7B6D
	v_mul_f32_e32 v110, v110, v190                             // 000000013EC8: 0ADD7D6E
	v_mul_f32_e32 v111, v111, v191                             // 000000013ECC: 0ADF7F6F
	v_pk_mul_f32 v[4:5], v[112:113], v[112:113]                // 000000013ED0: D3B14004 1802E170
	v_pk_mul_f32 v[6:7], v[114:115], v[114:115]                // 000000013ED8: D3B14006 1802E572
	v_pk_fma_f32 v[4:5], v[4:5], s[78:79], v[8:9]              // 000000013EE0: D3B04004 1C209D04
	v_pk_fma_f32 v[6:7], v[6:7], s[78:79], v[8:9]              // 000000013EE8: D3B04006 1C209D06
	v_pk_mul_f32 v[4:5], v[4:5], v[112:113]                    // 000000013EF0: D3B14004 1802E104
	v_pk_mul_f32 v[6:7], v[6:7], v[114:115]                    // 000000013EF8: D3B14006 1802E506
	v_pk_mul_f32 v[4:5], v[4:5], s[60:61]                      // 000000013F00: D3B14004 18007904
	v_pk_mul_f32 v[6:7], v[6:7], s[60:61]                      // 000000013F08: D3B14006 18007906
	v_exp_f32_e32 v4, v4                                       // 000000013F10: 7E084104
	v_exp_f32_e32 v5, v5                                       // 000000013F14: 7E0A4105
	v_exp_f32_e32 v6, v6                                       // 000000013F18: 7E0C4106
	v_exp_f32_e32 v7, v7                                       // 000000013F1C: 7E0E4107
	v_add_f32_e64 v4, v4, 1.0                                  // 000000013F20: D1010004 0001E504
	v_add_f32_e64 v5, v5, 1.0                                  // 000000013F28: D1010005 0001E505
	v_add_f32_e64 v6, v6, 1.0                                  // 000000013F30: D1010006 0001E506
	v_add_f32_e64 v7, v7, 1.0                                  // 000000013F38: D1010007 0001E507
	v_rcp_f32_e32 v4, v4                                       // 000000013F40: 7E084504
	v_rcp_f32_e32 v5, v5                                       // 000000013F44: 7E0A4505
	v_rcp_f32_e32 v6, v6                                       // 000000013F48: 7E0C4506
	v_rcp_f32_e32 v7, v7                                       // 000000013F4C: 7E0E4507
	v_mul_f32_e32 v112, v112, v4                               // 000000013F50: 0AE00970
	v_mul_f32_e32 v113, v113, v5                               // 000000013F54: 0AE20B71
	v_mul_f32_e32 v114, v114, v6                               // 000000013F58: 0AE40D72
	v_mul_f32_e32 v115, v115, v7                               // 000000013F5C: 0AE60F73
	v_mul_f32_e32 v112, v112, v192                             // 000000013F60: 0AE18170
	v_mul_f32_e32 v113, v113, v193                             // 000000013F64: 0AE38371
	v_mul_f32_e32 v114, v114, v194                             // 000000013F68: 0AE58572
	v_mul_f32_e32 v115, v115, v195                             // 000000013F6C: 0AE78773
	v_pk_mul_f32 v[4:5], v[116:117], v[116:117]                // 000000013F70: D3B14004 1802E974
	v_pk_mul_f32 v[6:7], v[118:119], v[118:119]                // 000000013F78: D3B14006 1802ED76
	v_pk_fma_f32 v[4:5], v[4:5], s[78:79], v[8:9]              // 000000013F80: D3B04004 1C209D04
	v_pk_fma_f32 v[6:7], v[6:7], s[78:79], v[8:9]              // 000000013F88: D3B04006 1C209D06
	v_pk_mul_f32 v[4:5], v[4:5], v[116:117]                    // 000000013F90: D3B14004 1802E904
	v_pk_mul_f32 v[6:7], v[6:7], v[118:119]                    // 000000013F98: D3B14006 1802ED06
	v_pk_mul_f32 v[4:5], v[4:5], s[60:61]                      // 000000013FA0: D3B14004 18007904
	v_pk_mul_f32 v[6:7], v[6:7], s[60:61]                      // 000000013FA8: D3B14006 18007906
	v_exp_f32_e32 v4, v4                                       // 000000013FB0: 7E084104
	v_exp_f32_e32 v5, v5                                       // 000000013FB4: 7E0A4105
	v_exp_f32_e32 v6, v6                                       // 000000013FB8: 7E0C4106
	v_exp_f32_e32 v7, v7                                       // 000000013FBC: 7E0E4107
	v_add_f32_e64 v4, v4, 1.0                                  // 000000013FC0: D1010004 0001E504
	v_add_f32_e64 v5, v5, 1.0                                  // 000000013FC8: D1010005 0001E505
	v_add_f32_e64 v6, v6, 1.0                                  // 000000013FD0: D1010006 0001E506
	v_add_f32_e64 v7, v7, 1.0                                  // 000000013FD8: D1010007 0001E507
	v_rcp_f32_e32 v4, v4                                       // 000000013FE0: 7E084504
	v_rcp_f32_e32 v5, v5                                       // 000000013FE4: 7E0A4505
	v_rcp_f32_e32 v6, v6                                       // 000000013FE8: 7E0C4506
	v_rcp_f32_e32 v7, v7                                       // 000000013FEC: 7E0E4507
	v_mul_f32_e32 v116, v116, v4                               // 000000013FF0: 0AE80974
	v_mul_f32_e32 v117, v117, v5                               // 000000013FF4: 0AEA0B75
	v_mul_f32_e32 v118, v118, v6                               // 000000013FF8: 0AEC0D76
	v_mul_f32_e32 v119, v119, v7                               // 000000013FFC: 0AEE0F77
	v_mul_f32_e32 v116, v116, v196                             // 000000014000: 0AE98974
	v_mul_f32_e32 v117, v117, v197                             // 000000014004: 0AEB8B75
	v_mul_f32_e32 v118, v118, v198                             // 000000014008: 0AED8D76
	v_mul_f32_e32 v119, v119, v199                             // 00000001400C: 0AEF8F77
	v_pk_mul_f32 v[4:5], v[120:121], v[120:121]                // 000000014010: D3B14004 1802F178
	v_pk_mul_f32 v[6:7], v[122:123], v[122:123]                // 000000014018: D3B14006 1802F57A
	v_pk_fma_f32 v[4:5], v[4:5], s[78:79], v[8:9]              // 000000014020: D3B04004 1C209D04
	v_pk_fma_f32 v[6:7], v[6:7], s[78:79], v[8:9]              // 000000014028: D3B04006 1C209D06
	v_pk_mul_f32 v[4:5], v[4:5], v[120:121]                    // 000000014030: D3B14004 1802F104
	v_pk_mul_f32 v[6:7], v[6:7], v[122:123]                    // 000000014038: D3B14006 1802F506
	v_pk_mul_f32 v[4:5], v[4:5], s[60:61]                      // 000000014040: D3B14004 18007904
	v_pk_mul_f32 v[6:7], v[6:7], s[60:61]                      // 000000014048: D3B14006 18007906
	v_exp_f32_e32 v4, v4                                       // 000000014050: 7E084104
	v_exp_f32_e32 v5, v5                                       // 000000014054: 7E0A4105
	v_exp_f32_e32 v6, v6                                       // 000000014058: 7E0C4106
	v_exp_f32_e32 v7, v7                                       // 00000001405C: 7E0E4107
	v_add_f32_e64 v4, v4, 1.0                                  // 000000014060: D1010004 0001E504
	v_add_f32_e64 v5, v5, 1.0                                  // 000000014068: D1010005 0001E505
	v_add_f32_e64 v6, v6, 1.0                                  // 000000014070: D1010006 0001E506
	v_add_f32_e64 v7, v7, 1.0                                  // 000000014078: D1010007 0001E507
	v_rcp_f32_e32 v4, v4                                       // 000000014080: 7E084504
	v_rcp_f32_e32 v5, v5                                       // 000000014084: 7E0A4505
	v_rcp_f32_e32 v6, v6                                       // 000000014088: 7E0C4506
	v_rcp_f32_e32 v7, v7                                       // 00000001408C: 7E0E4507
	v_mul_f32_e32 v120, v120, v4                               // 000000014090: 0AF00978
	v_mul_f32_e32 v121, v121, v5                               // 000000014094: 0AF20B79
	v_mul_f32_e32 v122, v122, v6                               // 000000014098: 0AF40D7A
	v_mul_f32_e32 v123, v123, v7                               // 00000001409C: 0AF60F7B
	v_mul_f32_e32 v120, v120, v200                             // 0000000140A0: 0AF19178
	v_mul_f32_e32 v121, v121, v201                             // 0000000140A4: 0AF39379
	v_mul_f32_e32 v122, v122, v202                             // 0000000140A8: 0AF5957A
	v_mul_f32_e32 v123, v123, v203                             // 0000000140AC: 0AF7977B
	v_pk_mul_f32 v[4:5], v[124:125], v[124:125]                // 0000000140B0: D3B14004 1802F97C
	v_pk_mul_f32 v[6:7], v[126:127], v[126:127]                // 0000000140B8: D3B14006 1802FD7E
	v_pk_fma_f32 v[4:5], v[4:5], s[78:79], v[8:9]              // 0000000140C0: D3B04004 1C209D04
	v_pk_fma_f32 v[6:7], v[6:7], s[78:79], v[8:9]              // 0000000140C8: D3B04006 1C209D06
	v_pk_mul_f32 v[4:5], v[4:5], v[124:125]                    // 0000000140D0: D3B14004 1802F904
	v_pk_mul_f32 v[6:7], v[6:7], v[126:127]                    // 0000000140D8: D3B14006 1802FD06
	v_pk_mul_f32 v[4:5], v[4:5], s[60:61]                      // 0000000140E0: D3B14004 18007904
	v_pk_mul_f32 v[6:7], v[6:7], s[60:61]                      // 0000000140E8: D3B14006 18007906
	v_exp_f32_e32 v4, v4                                       // 0000000140F0: 7E084104
	v_exp_f32_e32 v5, v5                                       // 0000000140F4: 7E0A4105
	v_exp_f32_e32 v6, v6                                       // 0000000140F8: 7E0C4106
	v_exp_f32_e32 v7, v7                                       // 0000000140FC: 7E0E4107
	v_add_f32_e64 v4, v4, 1.0                                  // 000000014100: D1010004 0001E504
	v_add_f32_e64 v5, v5, 1.0                                  // 000000014108: D1010005 0001E505
	v_add_f32_e64 v6, v6, 1.0                                  // 000000014110: D1010006 0001E506
	v_add_f32_e64 v7, v7, 1.0                                  // 000000014118: D1010007 0001E507
	v_rcp_f32_e32 v4, v4                                       // 000000014120: 7E084504
	v_rcp_f32_e32 v5, v5                                       // 000000014124: 7E0A4505
	v_rcp_f32_e32 v6, v6                                       // 000000014128: 7E0C4506
	v_rcp_f32_e32 v7, v7                                       // 00000001412C: 7E0E4507
	v_mul_f32_e32 v124, v124, v4                               // 000000014130: 0AF8097C
	v_mul_f32_e32 v125, v125, v5                               // 000000014134: 0AFA0B7D
	v_mul_f32_e32 v126, v126, v6                               // 000000014138: 0AFC0D7E
	v_mul_f32_e32 v127, v127, v7                               // 00000001413C: 0AFE0F7F
	v_mul_f32_e32 v124, v124, v204                             // 000000014140: 0AF9997C
	v_mul_f32_e32 v125, v125, v205                             // 000000014144: 0AFB9B7D
	v_mul_f32_e32 v126, v126, v206                             // 000000014148: 0AFD9D7E
	v_mul_f32_e32 v127, v127, v207                             // 00000001414C: 0AFF9F7F
	v_pk_mul_f32 v[4:5], v[128:129], v[128:129]                // 000000014150: D3B14004 18030180
	v_pk_mul_f32 v[6:7], v[130:131], v[130:131]                // 000000014158: D3B14006 18030582
	v_pk_fma_f32 v[4:5], v[4:5], s[78:79], v[8:9]              // 000000014160: D3B04004 1C209D04
	v_pk_fma_f32 v[6:7], v[6:7], s[78:79], v[8:9]              // 000000014168: D3B04006 1C209D06
	v_pk_mul_f32 v[4:5], v[4:5], v[128:129]                    // 000000014170: D3B14004 18030104
	v_pk_mul_f32 v[6:7], v[6:7], v[130:131]                    // 000000014178: D3B14006 18030506
	v_pk_mul_f32 v[4:5], v[4:5], s[60:61]                      // 000000014180: D3B14004 18007904
	v_pk_mul_f32 v[6:7], v[6:7], s[60:61]                      // 000000014188: D3B14006 18007906
	v_exp_f32_e32 v4, v4                                       // 000000014190: 7E084104
	v_exp_f32_e32 v5, v5                                       // 000000014194: 7E0A4105
	v_exp_f32_e32 v6, v6                                       // 000000014198: 7E0C4106
	v_exp_f32_e32 v7, v7                                       // 00000001419C: 7E0E4107
	v_add_f32_e64 v4, v4, 1.0                                  // 0000000141A0: D1010004 0001E504
	v_add_f32_e64 v5, v5, 1.0                                  // 0000000141A8: D1010005 0001E505
	v_add_f32_e64 v6, v6, 1.0                                  // 0000000141B0: D1010006 0001E506
	v_add_f32_e64 v7, v7, 1.0                                  // 0000000141B8: D1010007 0001E507
	v_rcp_f32_e32 v4, v4                                       // 0000000141C0: 7E084504
	v_rcp_f32_e32 v5, v5                                       // 0000000141C4: 7E0A4505
	v_rcp_f32_e32 v6, v6                                       // 0000000141C8: 7E0C4506
	v_rcp_f32_e32 v7, v7                                       // 0000000141CC: 7E0E4507
	v_mul_f32_e32 v128, v128, v4                               // 0000000141D0: 0B000980
	v_mul_f32_e32 v129, v129, v5                               // 0000000141D4: 0B020B81
	v_mul_f32_e32 v130, v130, v6                               // 0000000141D8: 0B040D82
	v_mul_f32_e32 v131, v131, v7                               // 0000000141DC: 0B060F83
	v_mul_f32_e32 v128, v128, v208                             // 0000000141E0: 0B01A180
	v_mul_f32_e32 v129, v129, v209                             // 0000000141E4: 0B03A381
	v_mul_f32_e32 v130, v130, v210                             // 0000000141E8: 0B05A582
	v_mul_f32_e32 v131, v131, v211                             // 0000000141EC: 0B07A783
	v_pk_mul_f32 v[4:5], v[132:133], v[132:133]                // 0000000141F0: D3B14004 18030984
	v_pk_mul_f32 v[6:7], v[134:135], v[134:135]                // 0000000141F8: D3B14006 18030D86
	v_pk_fma_f32 v[4:5], v[4:5], s[78:79], v[8:9]              // 000000014200: D3B04004 1C209D04
	v_pk_fma_f32 v[6:7], v[6:7], s[78:79], v[8:9]              // 000000014208: D3B04006 1C209D06
	v_pk_mul_f32 v[4:5], v[4:5], v[132:133]                    // 000000014210: D3B14004 18030904
	v_pk_mul_f32 v[6:7], v[6:7], v[134:135]                    // 000000014218: D3B14006 18030D06
	v_pk_mul_f32 v[4:5], v[4:5], s[60:61]                      // 000000014220: D3B14004 18007904
	v_pk_mul_f32 v[6:7], v[6:7], s[60:61]                      // 000000014228: D3B14006 18007906
	v_exp_f32_e32 v4, v4                                       // 000000014230: 7E084104
	v_exp_f32_e32 v5, v5                                       // 000000014234: 7E0A4105
	v_exp_f32_e32 v6, v6                                       // 000000014238: 7E0C4106
	v_exp_f32_e32 v7, v7                                       // 00000001423C: 7E0E4107
	v_add_f32_e64 v4, v4, 1.0                                  // 000000014240: D1010004 0001E504
	v_add_f32_e64 v5, v5, 1.0                                  // 000000014248: D1010005 0001E505
	v_add_f32_e64 v6, v6, 1.0                                  // 000000014250: D1010006 0001E506
	v_add_f32_e64 v7, v7, 1.0                                  // 000000014258: D1010007 0001E507
	v_rcp_f32_e32 v4, v4                                       // 000000014260: 7E084504
	v_rcp_f32_e32 v5, v5                                       // 000000014264: 7E0A4505
	v_rcp_f32_e32 v6, v6                                       // 000000014268: 7E0C4506
	v_rcp_f32_e32 v7, v7                                       // 00000001426C: 7E0E4507
	v_mul_f32_e32 v132, v132, v4                               // 000000014270: 0B080984
	v_mul_f32_e32 v133, v133, v5                               // 000000014274: 0B0A0B85
	v_mul_f32_e32 v134, v134, v6                               // 000000014278: 0B0C0D86
	v_mul_f32_e32 v135, v135, v7                               // 00000001427C: 0B0E0F87
	v_mul_f32_e32 v132, v132, v212                             // 000000014280: 0B09A984
	v_mul_f32_e32 v133, v133, v213                             // 000000014284: 0B0BAB85
	v_mul_f32_e32 v134, v134, v214                             // 000000014288: 0B0DAD86
	v_mul_f32_e32 v135, v135, v215                             // 00000001428C: 0B0FAF87
	v_pk_mul_f32 v[4:5], v[136:137], v[136:137]                // 000000014290: D3B14004 18031188
	v_pk_mul_f32 v[6:7], v[138:139], v[138:139]                // 000000014298: D3B14006 1803158A
	v_pk_fma_f32 v[4:5], v[4:5], s[78:79], v[8:9]              // 0000000142A0: D3B04004 1C209D04
	v_pk_fma_f32 v[6:7], v[6:7], s[78:79], v[8:9]              // 0000000142A8: D3B04006 1C209D06
	v_pk_mul_f32 v[4:5], v[4:5], v[136:137]                    // 0000000142B0: D3B14004 18031104
	v_pk_mul_f32 v[6:7], v[6:7], v[138:139]                    // 0000000142B8: D3B14006 18031506
	v_pk_mul_f32 v[4:5], v[4:5], s[60:61]                      // 0000000142C0: D3B14004 18007904
	v_pk_mul_f32 v[6:7], v[6:7], s[60:61]                      // 0000000142C8: D3B14006 18007906
	v_exp_f32_e32 v4, v4                                       // 0000000142D0: 7E084104
	v_exp_f32_e32 v5, v5                                       // 0000000142D4: 7E0A4105
	v_exp_f32_e32 v6, v6                                       // 0000000142D8: 7E0C4106
	v_exp_f32_e32 v7, v7                                       // 0000000142DC: 7E0E4107
	v_add_f32_e64 v4, v4, 1.0                                  // 0000000142E0: D1010004 0001E504
	v_add_f32_e64 v5, v5, 1.0                                  // 0000000142E8: D1010005 0001E505
	v_add_f32_e64 v6, v6, 1.0                                  // 0000000142F0: D1010006 0001E506
	v_add_f32_e64 v7, v7, 1.0                                  // 0000000142F8: D1010007 0001E507
	v_rcp_f32_e32 v4, v4                                       // 000000014300: 7E084504
	v_rcp_f32_e32 v5, v5                                       // 000000014304: 7E0A4505
	v_rcp_f32_e32 v6, v6                                       // 000000014308: 7E0C4506
	v_rcp_f32_e32 v7, v7                                       // 00000001430C: 7E0E4507
	v_mul_f32_e32 v136, v136, v4                               // 000000014310: 0B100988
	v_mul_f32_e32 v137, v137, v5                               // 000000014314: 0B120B89
	v_mul_f32_e32 v138, v138, v6                               // 000000014318: 0B140D8A
	v_mul_f32_e32 v139, v139, v7                               // 00000001431C: 0B160F8B
	v_mul_f32_e32 v136, v136, v216                             // 000000014320: 0B11B188
	v_mul_f32_e32 v137, v137, v217                             // 000000014324: 0B13B389
	v_mul_f32_e32 v138, v138, v218                             // 000000014328: 0B15B58A
	v_mul_f32_e32 v139, v139, v219                             // 00000001432C: 0B17B78B
	v_pk_mul_f32 v[4:5], v[140:141], v[140:141]                // 000000014330: D3B14004 1803198C
	v_pk_mul_f32 v[6:7], v[142:143], v[142:143]                // 000000014338: D3B14006 18031D8E
	v_pk_fma_f32 v[4:5], v[4:5], s[78:79], v[8:9]              // 000000014340: D3B04004 1C209D04
	v_pk_fma_f32 v[6:7], v[6:7], s[78:79], v[8:9]              // 000000014348: D3B04006 1C209D06
	v_pk_mul_f32 v[4:5], v[4:5], v[140:141]                    // 000000014350: D3B14004 18031904
	v_pk_mul_f32 v[6:7], v[6:7], v[142:143]                    // 000000014358: D3B14006 18031D06
	v_pk_mul_f32 v[4:5], v[4:5], s[60:61]                      // 000000014360: D3B14004 18007904
	v_pk_mul_f32 v[6:7], v[6:7], s[60:61]                      // 000000014368: D3B14006 18007906
	v_exp_f32_e32 v4, v4                                       // 000000014370: 7E084104
	v_exp_f32_e32 v5, v5                                       // 000000014374: 7E0A4105
	v_exp_f32_e32 v6, v6                                       // 000000014378: 7E0C4106
	v_exp_f32_e32 v7, v7                                       // 00000001437C: 7E0E4107
	v_add_f32_e64 v4, v4, 1.0                                  // 000000014380: D1010004 0001E504
	v_add_f32_e64 v5, v5, 1.0                                  // 000000014388: D1010005 0001E505
	v_add_f32_e64 v6, v6, 1.0                                  // 000000014390: D1010006 0001E506
	v_add_f32_e64 v7, v7, 1.0                                  // 000000014398: D1010007 0001E507
	v_rcp_f32_e32 v4, v4                                       // 0000000143A0: 7E084504
	v_rcp_f32_e32 v5, v5                                       // 0000000143A4: 7E0A4505
	v_rcp_f32_e32 v6, v6                                       // 0000000143A8: 7E0C4506
	v_rcp_f32_e32 v7, v7                                       // 0000000143AC: 7E0E4507
	v_mul_f32_e32 v140, v140, v4                               // 0000000143B0: 0B18098C
	v_mul_f32_e32 v141, v141, v5                               // 0000000143B4: 0B1A0B8D
	v_mul_f32_e32 v142, v142, v6                               // 0000000143B8: 0B1C0D8E
	v_mul_f32_e32 v143, v143, v7                               // 0000000143BC: 0B1E0F8F
	v_mul_f32_e32 v140, v140, v220                             // 0000000143C0: 0B19B98C
	v_mul_f32_e32 v141, v141, v221                             // 0000000143C4: 0B1BBB8D
	v_mul_f32_e32 v142, v142, v222                             // 0000000143C8: 0B1DBD8E
	v_mul_f32_e32 v143, v143, v223                             // 0000000143CC: 0B1FBF8F
	v_pk_mul_f32 v[4:5], v[144:145], v[144:145]                // 0000000143D0: D3B14004 18032190
	v_pk_mul_f32 v[6:7], v[146:147], v[146:147]                // 0000000143D8: D3B14006 18032592
	v_pk_fma_f32 v[4:5], v[4:5], s[78:79], v[8:9]              // 0000000143E0: D3B04004 1C209D04
	v_pk_fma_f32 v[6:7], v[6:7], s[78:79], v[8:9]              // 0000000143E8: D3B04006 1C209D06
	v_pk_mul_f32 v[4:5], v[4:5], v[144:145]                    // 0000000143F0: D3B14004 18032104
	v_pk_mul_f32 v[6:7], v[6:7], v[146:147]                    // 0000000143F8: D3B14006 18032506
	v_pk_mul_f32 v[4:5], v[4:5], s[60:61]                      // 000000014400: D3B14004 18007904
	v_pk_mul_f32 v[6:7], v[6:7], s[60:61]                      // 000000014408: D3B14006 18007906
	v_exp_f32_e32 v4, v4                                       // 000000014410: 7E084104
	v_exp_f32_e32 v5, v5                                       // 000000014414: 7E0A4105
	v_exp_f32_e32 v6, v6                                       // 000000014418: 7E0C4106
	v_exp_f32_e32 v7, v7                                       // 00000001441C: 7E0E4107
	v_add_f32_e64 v4, v4, 1.0                                  // 000000014420: D1010004 0001E504
	v_add_f32_e64 v5, v5, 1.0                                  // 000000014428: D1010005 0001E505
	v_add_f32_e64 v6, v6, 1.0                                  // 000000014430: D1010006 0001E506
	v_add_f32_e64 v7, v7, 1.0                                  // 000000014438: D1010007 0001E507
	v_rcp_f32_e32 v4, v4                                       // 000000014440: 7E084504
	v_rcp_f32_e32 v5, v5                                       // 000000014444: 7E0A4505
	v_rcp_f32_e32 v6, v6                                       // 000000014448: 7E0C4506
	v_rcp_f32_e32 v7, v7                                       // 00000001444C: 7E0E4507
	v_mul_f32_e32 v144, v144, v4                               // 000000014450: 0B200990
	v_mul_f32_e32 v145, v145, v5                               // 000000014454: 0B220B91
	v_mul_f32_e32 v146, v146, v6                               // 000000014458: 0B240D92
	v_mul_f32_e32 v147, v147, v7                               // 00000001445C: 0B260F93
	v_mul_f32_e32 v144, v144, v224                             // 000000014460: 0B21C190
	v_mul_f32_e32 v145, v145, v225                             // 000000014464: 0B23C391
	v_mul_f32_e32 v146, v146, v226                             // 000000014468: 0B25C592
	v_mul_f32_e32 v147, v147, v227                             // 00000001446C: 0B27C793
	v_pk_mul_f32 v[4:5], v[148:149], v[148:149]                // 000000014470: D3B14004 18032994
	v_pk_mul_f32 v[6:7], v[150:151], v[150:151]                // 000000014478: D3B14006 18032D96
	v_pk_fma_f32 v[4:5], v[4:5], s[78:79], v[8:9]              // 000000014480: D3B04004 1C209D04
	v_pk_fma_f32 v[6:7], v[6:7], s[78:79], v[8:9]              // 000000014488: D3B04006 1C209D06
	v_pk_mul_f32 v[4:5], v[4:5], v[148:149]                    // 000000014490: D3B14004 18032904
	v_pk_mul_f32 v[6:7], v[6:7], v[150:151]                    // 000000014498: D3B14006 18032D06
	v_pk_mul_f32 v[4:5], v[4:5], s[60:61]                      // 0000000144A0: D3B14004 18007904
	v_pk_mul_f32 v[6:7], v[6:7], s[60:61]                      // 0000000144A8: D3B14006 18007906
	v_exp_f32_e32 v4, v4                                       // 0000000144B0: 7E084104
	v_exp_f32_e32 v5, v5                                       // 0000000144B4: 7E0A4105
	v_exp_f32_e32 v6, v6                                       // 0000000144B8: 7E0C4106
	v_exp_f32_e32 v7, v7                                       // 0000000144BC: 7E0E4107
	v_add_f32_e64 v4, v4, 1.0                                  // 0000000144C0: D1010004 0001E504
	v_add_f32_e64 v5, v5, 1.0                                  // 0000000144C8: D1010005 0001E505
	v_add_f32_e64 v6, v6, 1.0                                  // 0000000144D0: D1010006 0001E506
	v_add_f32_e64 v7, v7, 1.0                                  // 0000000144D8: D1010007 0001E507
	v_rcp_f32_e32 v4, v4                                       // 0000000144E0: 7E084504
	v_rcp_f32_e32 v5, v5                                       // 0000000144E4: 7E0A4505
	v_rcp_f32_e32 v6, v6                                       // 0000000144E8: 7E0C4506
	v_rcp_f32_e32 v7, v7                                       // 0000000144EC: 7E0E4507
	v_mul_f32_e32 v148, v148, v4                               // 0000000144F0: 0B280994
	v_mul_f32_e32 v149, v149, v5                               // 0000000144F4: 0B2A0B95
	v_mul_f32_e32 v150, v150, v6                               // 0000000144F8: 0B2C0D96
	v_mul_f32_e32 v151, v151, v7                               // 0000000144FC: 0B2E0F97
	v_mul_f32_e32 v148, v148, v228                             // 000000014500: 0B29C994
	v_mul_f32_e32 v149, v149, v229                             // 000000014504: 0B2BCB95
	v_mul_f32_e32 v150, v150, v230                             // 000000014508: 0B2DCD96
	v_mul_f32_e32 v151, v151, v231                             // 00000001450C: 0B2FCF97
	v_pk_mul_f32 v[4:5], v[152:153], v[152:153]                // 000000014510: D3B14004 18033198
	v_pk_mul_f32 v[6:7], v[154:155], v[154:155]                // 000000014518: D3B14006 1803359A
	v_pk_fma_f32 v[4:5], v[4:5], s[78:79], v[8:9]              // 000000014520: D3B04004 1C209D04
	v_pk_fma_f32 v[6:7], v[6:7], s[78:79], v[8:9]              // 000000014528: D3B04006 1C209D06
	v_pk_mul_f32 v[4:5], v[4:5], v[152:153]                    // 000000014530: D3B14004 18033104
	v_pk_mul_f32 v[6:7], v[6:7], v[154:155]                    // 000000014538: D3B14006 18033506
	v_pk_mul_f32 v[4:5], v[4:5], s[60:61]                      // 000000014540: D3B14004 18007904
	v_pk_mul_f32 v[6:7], v[6:7], s[60:61]                      // 000000014548: D3B14006 18007906
	v_exp_f32_e32 v4, v4                                       // 000000014550: 7E084104
	v_exp_f32_e32 v5, v5                                       // 000000014554: 7E0A4105
	v_exp_f32_e32 v6, v6                                       // 000000014558: 7E0C4106
	v_exp_f32_e32 v7, v7                                       // 00000001455C: 7E0E4107
	v_add_f32_e64 v4, v4, 1.0                                  // 000000014560: D1010004 0001E504
	v_add_f32_e64 v5, v5, 1.0                                  // 000000014568: D1010005 0001E505
	v_add_f32_e64 v6, v6, 1.0                                  // 000000014570: D1010006 0001E506
	v_add_f32_e64 v7, v7, 1.0                                  // 000000014578: D1010007 0001E507
	v_rcp_f32_e32 v4, v4                                       // 000000014580: 7E084504
	v_rcp_f32_e32 v5, v5                                       // 000000014584: 7E0A4505
	v_rcp_f32_e32 v6, v6                                       // 000000014588: 7E0C4506
	v_rcp_f32_e32 v7, v7                                       // 00000001458C: 7E0E4507
	v_mul_f32_e32 v152, v152, v4                               // 000000014590: 0B300998
	v_mul_f32_e32 v153, v153, v5                               // 000000014594: 0B320B99
	v_mul_f32_e32 v154, v154, v6                               // 000000014598: 0B340D9A
	v_mul_f32_e32 v155, v155, v7                               // 00000001459C: 0B360F9B
	v_mul_f32_e32 v152, v152, v232                             // 0000000145A0: 0B31D198
	v_mul_f32_e32 v153, v153, v233                             // 0000000145A4: 0B33D399
	v_mul_f32_e32 v154, v154, v234                             // 0000000145A8: 0B35D59A
	v_mul_f32_e32 v155, v155, v235                             // 0000000145AC: 0B37D79B
	v_pk_mul_f32 v[4:5], v[156:157], v[156:157]                // 0000000145B0: D3B14004 1803399C
	v_pk_mul_f32 v[6:7], v[158:159], v[158:159]                // 0000000145B8: D3B14006 18033D9E
	v_pk_fma_f32 v[4:5], v[4:5], s[78:79], v[8:9]              // 0000000145C0: D3B04004 1C209D04
	v_pk_fma_f32 v[6:7], v[6:7], s[78:79], v[8:9]              // 0000000145C8: D3B04006 1C209D06
	v_pk_mul_f32 v[4:5], v[4:5], v[156:157]                    // 0000000145D0: D3B14004 18033904
	v_pk_mul_f32 v[6:7], v[6:7], v[158:159]                    // 0000000145D8: D3B14006 18033D06
	v_pk_mul_f32 v[4:5], v[4:5], s[60:61]                      // 0000000145E0: D3B14004 18007904
	v_pk_mul_f32 v[6:7], v[6:7], s[60:61]                      // 0000000145E8: D3B14006 18007906
	v_exp_f32_e32 v4, v4                                       // 0000000145F0: 7E084104
	v_exp_f32_e32 v5, v5                                       // 0000000145F4: 7E0A4105
	v_exp_f32_e32 v6, v6                                       // 0000000145F8: 7E0C4106
	v_exp_f32_e32 v7, v7                                       // 0000000145FC: 7E0E4107
	v_add_f32_e64 v4, v4, 1.0                                  // 000000014600: D1010004 0001E504
	v_add_f32_e64 v5, v5, 1.0                                  // 000000014608: D1010005 0001E505
	v_add_f32_e64 v6, v6, 1.0                                  // 000000014610: D1010006 0001E506
	v_add_f32_e64 v7, v7, 1.0                                  // 000000014618: D1010007 0001E507
	v_rcp_f32_e32 v4, v4                                       // 000000014620: 7E084504
	v_rcp_f32_e32 v5, v5                                       // 000000014624: 7E0A4505
	v_rcp_f32_e32 v6, v6                                       // 000000014628: 7E0C4506
	v_rcp_f32_e32 v7, v7                                       // 00000001462C: 7E0E4507
	v_mul_f32_e32 v156, v156, v4                               // 000000014630: 0B38099C
	v_mul_f32_e32 v157, v157, v5                               // 000000014634: 0B3A0B9D
	v_mul_f32_e32 v158, v158, v6                               // 000000014638: 0B3C0D9E
	v_mul_f32_e32 v159, v159, v7                               // 00000001463C: 0B3E0F9F
	v_mul_f32_e32 v156, v156, v236                             // 000000014640: 0B39D99C
	v_mul_f32_e32 v157, v157, v237                             // 000000014644: 0B3BDB9D
	v_mul_f32_e32 v158, v158, v238                             // 000000014648: 0B3DDD9E
	v_mul_f32_e32 v159, v159, v239                             // 00000001464C: 0B3FDF9F
	v_pk_mul_f32 v[4:5], v[160:161], v[160:161]                // 000000014650: D3B14004 180341A0
	v_pk_mul_f32 v[6:7], v[162:163], v[162:163]                // 000000014658: D3B14006 180345A2
	v_pk_fma_f32 v[4:5], v[4:5], s[78:79], v[8:9]              // 000000014660: D3B04004 1C209D04
	v_pk_fma_f32 v[6:7], v[6:7], s[78:79], v[8:9]              // 000000014668: D3B04006 1C209D06
	v_pk_mul_f32 v[4:5], v[4:5], v[160:161]                    // 000000014670: D3B14004 18034104
	v_pk_mul_f32 v[6:7], v[6:7], v[162:163]                    // 000000014678: D3B14006 18034506
	v_pk_mul_f32 v[4:5], v[4:5], s[60:61]                      // 000000014680: D3B14004 18007904
	v_pk_mul_f32 v[6:7], v[6:7], s[60:61]                      // 000000014688: D3B14006 18007906
	v_exp_f32_e32 v4, v4                                       // 000000014690: 7E084104
	v_exp_f32_e32 v5, v5                                       // 000000014694: 7E0A4105
	v_exp_f32_e32 v6, v6                                       // 000000014698: 7E0C4106
	v_exp_f32_e32 v7, v7                                       // 00000001469C: 7E0E4107
	v_add_f32_e64 v4, v4, 1.0                                  // 0000000146A0: D1010004 0001E504
	v_add_f32_e64 v5, v5, 1.0                                  // 0000000146A8: D1010005 0001E505
	v_add_f32_e64 v6, v6, 1.0                                  // 0000000146B0: D1010006 0001E506
	v_add_f32_e64 v7, v7, 1.0                                  // 0000000146B8: D1010007 0001E507
	v_rcp_f32_e32 v4, v4                                       // 0000000146C0: 7E084504
	v_rcp_f32_e32 v5, v5                                       // 0000000146C4: 7E0A4505
	v_rcp_f32_e32 v6, v6                                       // 0000000146C8: 7E0C4506
	v_rcp_f32_e32 v7, v7                                       // 0000000146CC: 7E0E4507
	v_mul_f32_e32 v160, v160, v4                               // 0000000146D0: 0B4009A0
	v_mul_f32_e32 v161, v161, v5                               // 0000000146D4: 0B420BA1
	v_mul_f32_e32 v162, v162, v6                               // 0000000146D8: 0B440DA2
	v_mul_f32_e32 v163, v163, v7                               // 0000000146DC: 0B460FA3
	v_mul_f32_e32 v160, v160, v240                             // 0000000146E0: 0B41E1A0
	v_mul_f32_e32 v161, v161, v241                             // 0000000146E4: 0B43E3A1
	v_mul_f32_e32 v162, v162, v242                             // 0000000146E8: 0B45E5A2
	v_mul_f32_e32 v163, v163, v243                             // 0000000146EC: 0B47E7A3
	v_pk_mul_f32 v[4:5], v[164:165], v[164:165]                // 0000000146F0: D3B14004 180349A4
	v_pk_mul_f32 v[6:7], v[166:167], v[166:167]                // 0000000146F8: D3B14006 18034DA6
	v_pk_fma_f32 v[4:5], v[4:5], s[78:79], v[8:9]              // 000000014700: D3B04004 1C209D04
	v_pk_fma_f32 v[6:7], v[6:7], s[78:79], v[8:9]              // 000000014708: D3B04006 1C209D06
	v_pk_mul_f32 v[4:5], v[4:5], v[164:165]                    // 000000014710: D3B14004 18034904
	v_pk_mul_f32 v[6:7], v[6:7], v[166:167]                    // 000000014718: D3B14006 18034D06
	v_pk_mul_f32 v[4:5], v[4:5], s[60:61]                      // 000000014720: D3B14004 18007904
	v_pk_mul_f32 v[6:7], v[6:7], s[60:61]                      // 000000014728: D3B14006 18007906
	v_exp_f32_e32 v4, v4                                       // 000000014730: 7E084104
	v_exp_f32_e32 v5, v5                                       // 000000014734: 7E0A4105
	v_exp_f32_e32 v6, v6                                       // 000000014738: 7E0C4106
	v_exp_f32_e32 v7, v7                                       // 00000001473C: 7E0E4107
	v_add_f32_e64 v4, v4, 1.0                                  // 000000014740: D1010004 0001E504
	v_add_f32_e64 v5, v5, 1.0                                  // 000000014748: D1010005 0001E505
	v_add_f32_e64 v6, v6, 1.0                                  // 000000014750: D1010006 0001E506
	v_add_f32_e64 v7, v7, 1.0                                  // 000000014758: D1010007 0001E507
	v_rcp_f32_e32 v4, v4                                       // 000000014760: 7E084504
	v_rcp_f32_e32 v5, v5                                       // 000000014764: 7E0A4505
	v_rcp_f32_e32 v6, v6                                       // 000000014768: 7E0C4506
	v_rcp_f32_e32 v7, v7                                       // 00000001476C: 7E0E4507
	v_mul_f32_e32 v164, v164, v4                               // 000000014770: 0B4809A4
	v_mul_f32_e32 v165, v165, v5                               // 000000014774: 0B4A0BA5
	v_mul_f32_e32 v166, v166, v6                               // 000000014778: 0B4C0DA6
	v_mul_f32_e32 v167, v167, v7                               // 00000001477C: 0B4E0FA7
	v_mul_f32_e32 v164, v164, v244                             // 000000014780: 0B49E9A4
	v_mul_f32_e32 v165, v165, v245                             // 000000014784: 0B4BEBA5
	v_mul_f32_e32 v166, v166, v246                             // 000000014788: 0B4DEDA6
	v_mul_f32_e32 v167, v167, v247                             // 00000001478C: 0B4FEFA7
	v_pk_mul_f32 v[4:5], v[168:169], v[168:169]                // 000000014790: D3B14004 180351A8
	v_pk_mul_f32 v[6:7], v[170:171], v[170:171]                // 000000014798: D3B14006 180355AA
	v_pk_fma_f32 v[4:5], v[4:5], s[78:79], v[8:9]              // 0000000147A0: D3B04004 1C209D04
	v_pk_fma_f32 v[6:7], v[6:7], s[78:79], v[8:9]              // 0000000147A8: D3B04006 1C209D06
	v_pk_mul_f32 v[4:5], v[4:5], v[168:169]                    // 0000000147B0: D3B14004 18035104
	v_pk_mul_f32 v[6:7], v[6:7], v[170:171]                    // 0000000147B8: D3B14006 18035506
	v_pk_mul_f32 v[4:5], v[4:5], s[60:61]                      // 0000000147C0: D3B14004 18007904
	v_pk_mul_f32 v[6:7], v[6:7], s[60:61]                      // 0000000147C8: D3B14006 18007906
	v_exp_f32_e32 v4, v4                                       // 0000000147D0: 7E084104
	v_exp_f32_e32 v5, v5                                       // 0000000147D4: 7E0A4105
	v_exp_f32_e32 v6, v6                                       // 0000000147D8: 7E0C4106
	v_exp_f32_e32 v7, v7                                       // 0000000147DC: 7E0E4107
	v_add_f32_e64 v4, v4, 1.0                                  // 0000000147E0: D1010004 0001E504
	v_add_f32_e64 v5, v5, 1.0                                  // 0000000147E8: D1010005 0001E505
	v_add_f32_e64 v6, v6, 1.0                                  // 0000000147F0: D1010006 0001E506
	v_add_f32_e64 v7, v7, 1.0                                  // 0000000147F8: D1010007 0001E507
	v_rcp_f32_e32 v4, v4                                       // 000000014800: 7E084504
	v_rcp_f32_e32 v5, v5                                       // 000000014804: 7E0A4505
	v_rcp_f32_e32 v6, v6                                       // 000000014808: 7E0C4506
	v_rcp_f32_e32 v7, v7                                       // 00000001480C: 7E0E4507
	v_mul_f32_e32 v168, v168, v4                               // 000000014810: 0B5009A8
	v_mul_f32_e32 v169, v169, v5                               // 000000014814: 0B520BA9
	v_mul_f32_e32 v170, v170, v6                               // 000000014818: 0B540DAA
	v_mul_f32_e32 v171, v171, v7                               // 00000001481C: 0B560FAB
	v_mul_f32_e32 v168, v168, v248                             // 000000014820: 0B51F1A8
	v_mul_f32_e32 v169, v169, v249                             // 000000014824: 0B53F3A9
	v_mul_f32_e32 v170, v170, v250                             // 000000014828: 0B55F5AA
	v_mul_f32_e32 v171, v171, v251                             // 00000001482C: 0B57F7AB
	s_branch label_4A10                                        // 000000014830: BF820280

0000000000014834 <label_4790>:
	v_mul_f32_e64 v4, -v92, s6                                 // 000000014834: D1050004 20000D5C
	v_mul_f32_e64 v5, -v93, s6                                 // 00000001483C: D1050005 20000D5D
	v_mul_f32_e64 v6, -v94, s6                                 // 000000014844: D1050006 20000D5E
	v_mul_f32_e64 v7, -v95, s6                                 // 00000001484C: D1050007 20000D5F
	v_exp_f32_e32 v4, v4                                       // 000000014854: 7E084104
	v_exp_f32_e32 v5, v5                                       // 000000014858: 7E0A4105
	v_exp_f32_e32 v6, v6                                       // 00000001485C: 7E0C4106
	v_exp_f32_e32 v7, v7                                       // 000000014860: 7E0E4107
	v_add_f32_e64 v4, v4, 1.0                                  // 000000014864: D1010004 0001E504
	v_add_f32_e64 v5, v5, 1.0                                  // 00000001486C: D1010005 0001E505
	v_add_f32_e64 v6, v6, 1.0                                  // 000000014874: D1010006 0001E506
	v_add_f32_e64 v7, v7, 1.0                                  // 00000001487C: D1010007 0001E507
	v_rcp_f32_e32 v4, v4                                       // 000000014884: 7E084504
	v_rcp_f32_e32 v5, v5                                       // 000000014888: 7E0A4505
	v_rcp_f32_e32 v6, v6                                       // 00000001488C: 7E0C4506
	v_rcp_f32_e32 v7, v7                                       // 000000014890: 7E0E4507
	v_mul_f32_e32 v92, v92, v4                                 // 000000014894: 0AB8095C
	v_mul_f32_e32 v93, v93, v5                                 // 000000014898: 0ABA0B5D
	v_mul_f32_e32 v94, v94, v6                                 // 00000001489C: 0ABC0D5E
	v_mul_f32_e32 v95, v95, v7                                 // 0000000148A0: 0ABE0F5F
	v_mul_f32_e32 v92, v92, v172                               // 0000000148A4: 0AB9595C
	v_mul_f32_e32 v93, v93, v173                               // 0000000148A8: 0ABB5B5D
	v_mul_f32_e32 v94, v94, v174                               // 0000000148AC: 0ABD5D5E
	v_mul_f32_e32 v95, v95, v175                               // 0000000148B0: 0ABF5F5F
	v_mul_f32_e64 v4, -v96, s6                                 // 0000000148B4: D1050004 20000D60
	v_mul_f32_e64 v5, -v97, s6                                 // 0000000148BC: D1050005 20000D61
	v_mul_f32_e64 v6, -v98, s6                                 // 0000000148C4: D1050006 20000D62
	v_mul_f32_e64 v7, -v99, s6                                 // 0000000148CC: D1050007 20000D63
	v_exp_f32_e32 v4, v4                                       // 0000000148D4: 7E084104
	v_exp_f32_e32 v5, v5                                       // 0000000148D8: 7E0A4105
	v_exp_f32_e32 v6, v6                                       // 0000000148DC: 7E0C4106
	v_exp_f32_e32 v7, v7                                       // 0000000148E0: 7E0E4107
	v_add_f32_e64 v4, v4, 1.0                                  // 0000000148E4: D1010004 0001E504
	v_add_f32_e64 v5, v5, 1.0                                  // 0000000148EC: D1010005 0001E505
	v_add_f32_e64 v6, v6, 1.0                                  // 0000000148F4: D1010006 0001E506
	v_add_f32_e64 v7, v7, 1.0                                  // 0000000148FC: D1010007 0001E507
	v_rcp_f32_e32 v4, v4                                       // 000000014904: 7E084504
	v_rcp_f32_e32 v5, v5                                       // 000000014908: 7E0A4505
	v_rcp_f32_e32 v6, v6                                       // 00000001490C: 7E0C4506
	v_rcp_f32_e32 v7, v7                                       // 000000014910: 7E0E4507
	v_mul_f32_e32 v96, v96, v4                                 // 000000014914: 0AC00960
	v_mul_f32_e32 v97, v97, v5                                 // 000000014918: 0AC20B61
	v_mul_f32_e32 v98, v98, v6                                 // 00000001491C: 0AC40D62
	v_mul_f32_e32 v99, v99, v7                                 // 000000014920: 0AC60F63
	v_mul_f32_e32 v96, v96, v176                               // 000000014924: 0AC16160
	v_mul_f32_e32 v97, v97, v177                               // 000000014928: 0AC36361
	v_mul_f32_e32 v98, v98, v178                               // 00000001492C: 0AC56562
	v_mul_f32_e32 v99, v99, v179                               // 000000014930: 0AC76763
	v_mul_f32_e64 v4, -v100, s6                                // 000000014934: D1050004 20000D64
	v_mul_f32_e64 v5, -v101, s6                                // 00000001493C: D1050005 20000D65
	v_mul_f32_e64 v6, -v102, s6                                // 000000014944: D1050006 20000D66
	v_mul_f32_e64 v7, -v103, s6                                // 00000001494C: D1050007 20000D67
	v_exp_f32_e32 v4, v4                                       // 000000014954: 7E084104
	v_exp_f32_e32 v5, v5                                       // 000000014958: 7E0A4105
	v_exp_f32_e32 v6, v6                                       // 00000001495C: 7E0C4106
	v_exp_f32_e32 v7, v7                                       // 000000014960: 7E0E4107
	v_add_f32_e64 v4, v4, 1.0                                  // 000000014964: D1010004 0001E504
	v_add_f32_e64 v5, v5, 1.0                                  // 00000001496C: D1010005 0001E505
	v_add_f32_e64 v6, v6, 1.0                                  // 000000014974: D1010006 0001E506
	v_add_f32_e64 v7, v7, 1.0                                  // 00000001497C: D1010007 0001E507
	v_rcp_f32_e32 v4, v4                                       // 000000014984: 7E084504
	v_rcp_f32_e32 v5, v5                                       // 000000014988: 7E0A4505
	v_rcp_f32_e32 v6, v6                                       // 00000001498C: 7E0C4506
	v_rcp_f32_e32 v7, v7                                       // 000000014990: 7E0E4507
	v_mul_f32_e32 v100, v100, v4                               // 000000014994: 0AC80964
	v_mul_f32_e32 v101, v101, v5                               // 000000014998: 0ACA0B65
	v_mul_f32_e32 v102, v102, v6                               // 00000001499C: 0ACC0D66
	v_mul_f32_e32 v103, v103, v7                               // 0000000149A0: 0ACE0F67
	v_mul_f32_e32 v100, v100, v180                             // 0000000149A4: 0AC96964
	v_mul_f32_e32 v101, v101, v181                             // 0000000149A8: 0ACB6B65
	v_mul_f32_e32 v102, v102, v182                             // 0000000149AC: 0ACD6D66
	v_mul_f32_e32 v103, v103, v183                             // 0000000149B0: 0ACF6F67
	v_mul_f32_e64 v4, -v104, s6                                // 0000000149B4: D1050004 20000D68
	v_mul_f32_e64 v5, -v105, s6                                // 0000000149BC: D1050005 20000D69
	v_mul_f32_e64 v6, -v106, s6                                // 0000000149C4: D1050006 20000D6A
	v_mul_f32_e64 v7, -v107, s6                                // 0000000149CC: D1050007 20000D6B
	v_exp_f32_e32 v4, v4                                       // 0000000149D4: 7E084104
	v_exp_f32_e32 v5, v5                                       // 0000000149D8: 7E0A4105
	v_exp_f32_e32 v6, v6                                       // 0000000149DC: 7E0C4106
	v_exp_f32_e32 v7, v7                                       // 0000000149E0: 7E0E4107
	v_add_f32_e64 v4, v4, 1.0                                  // 0000000149E4: D1010004 0001E504
	v_add_f32_e64 v5, v5, 1.0                                  // 0000000149EC: D1010005 0001E505
	v_add_f32_e64 v6, v6, 1.0                                  // 0000000149F4: D1010006 0001E506
	v_add_f32_e64 v7, v7, 1.0                                  // 0000000149FC: D1010007 0001E507
	v_rcp_f32_e32 v4, v4                                       // 000000014A04: 7E084504
	v_rcp_f32_e32 v5, v5                                       // 000000014A08: 7E0A4505
	v_rcp_f32_e32 v6, v6                                       // 000000014A0C: 7E0C4506
	v_rcp_f32_e32 v7, v7                                       // 000000014A10: 7E0E4507
	v_mul_f32_e32 v104, v104, v4                               // 000000014A14: 0AD00968
	v_mul_f32_e32 v105, v105, v5                               // 000000014A18: 0AD20B69
	v_mul_f32_e32 v106, v106, v6                               // 000000014A1C: 0AD40D6A
	v_mul_f32_e32 v107, v107, v7                               // 000000014A20: 0AD60F6B
	v_mul_f32_e32 v104, v104, v184                             // 000000014A24: 0AD17168
	v_mul_f32_e32 v105, v105, v185                             // 000000014A28: 0AD37369
	v_mul_f32_e32 v106, v106, v186                             // 000000014A2C: 0AD5756A
	v_mul_f32_e32 v107, v107, v187                             // 000000014A30: 0AD7776B
	v_mul_f32_e64 v4, -v108, s6                                // 000000014A34: D1050004 20000D6C
	v_mul_f32_e64 v5, -v109, s6                                // 000000014A3C: D1050005 20000D6D
	v_mul_f32_e64 v6, -v110, s6                                // 000000014A44: D1050006 20000D6E
	v_mul_f32_e64 v7, -v111, s6                                // 000000014A4C: D1050007 20000D6F
	v_exp_f32_e32 v4, v4                                       // 000000014A54: 7E084104
	v_exp_f32_e32 v5, v5                                       // 000000014A58: 7E0A4105
	v_exp_f32_e32 v6, v6                                       // 000000014A5C: 7E0C4106
	v_exp_f32_e32 v7, v7                                       // 000000014A60: 7E0E4107
	v_add_f32_e64 v4, v4, 1.0                                  // 000000014A64: D1010004 0001E504
	v_add_f32_e64 v5, v5, 1.0                                  // 000000014A6C: D1010005 0001E505
	v_add_f32_e64 v6, v6, 1.0                                  // 000000014A74: D1010006 0001E506
	v_add_f32_e64 v7, v7, 1.0                                  // 000000014A7C: D1010007 0001E507
	v_rcp_f32_e32 v4, v4                                       // 000000014A84: 7E084504
	v_rcp_f32_e32 v5, v5                                       // 000000014A88: 7E0A4505
	v_rcp_f32_e32 v6, v6                                       // 000000014A8C: 7E0C4506
	v_rcp_f32_e32 v7, v7                                       // 000000014A90: 7E0E4507
	v_mul_f32_e32 v108, v108, v4                               // 000000014A94: 0AD8096C
	v_mul_f32_e32 v109, v109, v5                               // 000000014A98: 0ADA0B6D
	v_mul_f32_e32 v110, v110, v6                               // 000000014A9C: 0ADC0D6E
	v_mul_f32_e32 v111, v111, v7                               // 000000014AA0: 0ADE0F6F
	v_mul_f32_e32 v108, v108, v188                             // 000000014AA4: 0AD9796C
	v_mul_f32_e32 v109, v109, v189                             // 000000014AA8: 0ADB7B6D
	v_mul_f32_e32 v110, v110, v190                             // 000000014AAC: 0ADD7D6E
	v_mul_f32_e32 v111, v111, v191                             // 000000014AB0: 0ADF7F6F
	v_mul_f32_e64 v4, -v112, s6                                // 000000014AB4: D1050004 20000D70
	v_mul_f32_e64 v5, -v113, s6                                // 000000014ABC: D1050005 20000D71
	v_mul_f32_e64 v6, -v114, s6                                // 000000014AC4: D1050006 20000D72
	v_mul_f32_e64 v7, -v115, s6                                // 000000014ACC: D1050007 20000D73
	v_exp_f32_e32 v4, v4                                       // 000000014AD4: 7E084104
	v_exp_f32_e32 v5, v5                                       // 000000014AD8: 7E0A4105
	v_exp_f32_e32 v6, v6                                       // 000000014ADC: 7E0C4106
	v_exp_f32_e32 v7, v7                                       // 000000014AE0: 7E0E4107
	v_add_f32_e64 v4, v4, 1.0                                  // 000000014AE4: D1010004 0001E504
	v_add_f32_e64 v5, v5, 1.0                                  // 000000014AEC: D1010005 0001E505
	v_add_f32_e64 v6, v6, 1.0                                  // 000000014AF4: D1010006 0001E506
	v_add_f32_e64 v7, v7, 1.0                                  // 000000014AFC: D1010007 0001E507
	v_rcp_f32_e32 v4, v4                                       // 000000014B04: 7E084504
	v_rcp_f32_e32 v5, v5                                       // 000000014B08: 7E0A4505
	v_rcp_f32_e32 v6, v6                                       // 000000014B0C: 7E0C4506
	v_rcp_f32_e32 v7, v7                                       // 000000014B10: 7E0E4507
	v_mul_f32_e32 v112, v112, v4                               // 000000014B14: 0AE00970
	v_mul_f32_e32 v113, v113, v5                               // 000000014B18: 0AE20B71
	v_mul_f32_e32 v114, v114, v6                               // 000000014B1C: 0AE40D72
	v_mul_f32_e32 v115, v115, v7                               // 000000014B20: 0AE60F73
	v_mul_f32_e32 v112, v112, v192                             // 000000014B24: 0AE18170
	v_mul_f32_e32 v113, v113, v193                             // 000000014B28: 0AE38371
	v_mul_f32_e32 v114, v114, v194                             // 000000014B2C: 0AE58572
	v_mul_f32_e32 v115, v115, v195                             // 000000014B30: 0AE78773
	v_mul_f32_e64 v4, -v116, s6                                // 000000014B34: D1050004 20000D74
	v_mul_f32_e64 v5, -v117, s6                                // 000000014B3C: D1050005 20000D75
	v_mul_f32_e64 v6, -v118, s6                                // 000000014B44: D1050006 20000D76
	v_mul_f32_e64 v7, -v119, s6                                // 000000014B4C: D1050007 20000D77
	v_exp_f32_e32 v4, v4                                       // 000000014B54: 7E084104
	v_exp_f32_e32 v5, v5                                       // 000000014B58: 7E0A4105
	v_exp_f32_e32 v6, v6                                       // 000000014B5C: 7E0C4106
	v_exp_f32_e32 v7, v7                                       // 000000014B60: 7E0E4107
	v_add_f32_e64 v4, v4, 1.0                                  // 000000014B64: D1010004 0001E504
	v_add_f32_e64 v5, v5, 1.0                                  // 000000014B6C: D1010005 0001E505
	v_add_f32_e64 v6, v6, 1.0                                  // 000000014B74: D1010006 0001E506
	v_add_f32_e64 v7, v7, 1.0                                  // 000000014B7C: D1010007 0001E507
	v_rcp_f32_e32 v4, v4                                       // 000000014B84: 7E084504
	v_rcp_f32_e32 v5, v5                                       // 000000014B88: 7E0A4505
	v_rcp_f32_e32 v6, v6                                       // 000000014B8C: 7E0C4506
	v_rcp_f32_e32 v7, v7                                       // 000000014B90: 7E0E4507
	v_mul_f32_e32 v116, v116, v4                               // 000000014B94: 0AE80974
	v_mul_f32_e32 v117, v117, v5                               // 000000014B98: 0AEA0B75
	v_mul_f32_e32 v118, v118, v6                               // 000000014B9C: 0AEC0D76
	v_mul_f32_e32 v119, v119, v7                               // 000000014BA0: 0AEE0F77
	v_mul_f32_e32 v116, v116, v196                             // 000000014BA4: 0AE98974
	v_mul_f32_e32 v117, v117, v197                             // 000000014BA8: 0AEB8B75
	v_mul_f32_e32 v118, v118, v198                             // 000000014BAC: 0AED8D76
	v_mul_f32_e32 v119, v119, v199                             // 000000014BB0: 0AEF8F77
	v_mul_f32_e64 v4, -v120, s6                                // 000000014BB4: D1050004 20000D78
	v_mul_f32_e64 v5, -v121, s6                                // 000000014BBC: D1050005 20000D79
	v_mul_f32_e64 v6, -v122, s6                                // 000000014BC4: D1050006 20000D7A
	v_mul_f32_e64 v7, -v123, s6                                // 000000014BCC: D1050007 20000D7B
	v_exp_f32_e32 v4, v4                                       // 000000014BD4: 7E084104
	v_exp_f32_e32 v5, v5                                       // 000000014BD8: 7E0A4105
	v_exp_f32_e32 v6, v6                                       // 000000014BDC: 7E0C4106
	v_exp_f32_e32 v7, v7                                       // 000000014BE0: 7E0E4107
	v_add_f32_e64 v4, v4, 1.0                                  // 000000014BE4: D1010004 0001E504
	v_add_f32_e64 v5, v5, 1.0                                  // 000000014BEC: D1010005 0001E505
	v_add_f32_e64 v6, v6, 1.0                                  // 000000014BF4: D1010006 0001E506
	v_add_f32_e64 v7, v7, 1.0                                  // 000000014BFC: D1010007 0001E507
	v_rcp_f32_e32 v4, v4                                       // 000000014C04: 7E084504
	v_rcp_f32_e32 v5, v5                                       // 000000014C08: 7E0A4505
	v_rcp_f32_e32 v6, v6                                       // 000000014C0C: 7E0C4506
	v_rcp_f32_e32 v7, v7                                       // 000000014C10: 7E0E4507
	v_mul_f32_e32 v120, v120, v4                               // 000000014C14: 0AF00978
	v_mul_f32_e32 v121, v121, v5                               // 000000014C18: 0AF20B79
	v_mul_f32_e32 v122, v122, v6                               // 000000014C1C: 0AF40D7A
	v_mul_f32_e32 v123, v123, v7                               // 000000014C20: 0AF60F7B
	v_mul_f32_e32 v120, v120, v200                             // 000000014C24: 0AF19178
	v_mul_f32_e32 v121, v121, v201                             // 000000014C28: 0AF39379
	v_mul_f32_e32 v122, v122, v202                             // 000000014C2C: 0AF5957A
	v_mul_f32_e32 v123, v123, v203                             // 000000014C30: 0AF7977B
	v_mul_f32_e64 v4, -v124, s6                                // 000000014C34: D1050004 20000D7C
	v_mul_f32_e64 v5, -v125, s6                                // 000000014C3C: D1050005 20000D7D
	v_mul_f32_e64 v6, -v126, s6                                // 000000014C44: D1050006 20000D7E
	v_mul_f32_e64 v7, -v127, s6                                // 000000014C4C: D1050007 20000D7F
	v_exp_f32_e32 v4, v4                                       // 000000014C54: 7E084104
	v_exp_f32_e32 v5, v5                                       // 000000014C58: 7E0A4105
	v_exp_f32_e32 v6, v6                                       // 000000014C5C: 7E0C4106
	v_exp_f32_e32 v7, v7                                       // 000000014C60: 7E0E4107
	v_add_f32_e64 v4, v4, 1.0                                  // 000000014C64: D1010004 0001E504
	v_add_f32_e64 v5, v5, 1.0                                  // 000000014C6C: D1010005 0001E505
	v_add_f32_e64 v6, v6, 1.0                                  // 000000014C74: D1010006 0001E506
	v_add_f32_e64 v7, v7, 1.0                                  // 000000014C7C: D1010007 0001E507
	v_rcp_f32_e32 v4, v4                                       // 000000014C84: 7E084504
	v_rcp_f32_e32 v5, v5                                       // 000000014C88: 7E0A4505
	v_rcp_f32_e32 v6, v6                                       // 000000014C8C: 7E0C4506
	v_rcp_f32_e32 v7, v7                                       // 000000014C90: 7E0E4507
	v_mul_f32_e32 v124, v124, v4                               // 000000014C94: 0AF8097C
	v_mul_f32_e32 v125, v125, v5                               // 000000014C98: 0AFA0B7D
	v_mul_f32_e32 v126, v126, v6                               // 000000014C9C: 0AFC0D7E
	v_mul_f32_e32 v127, v127, v7                               // 000000014CA0: 0AFE0F7F
	v_mul_f32_e32 v124, v124, v204                             // 000000014CA4: 0AF9997C
	v_mul_f32_e32 v125, v125, v205                             // 000000014CA8: 0AFB9B7D
	v_mul_f32_e32 v126, v126, v206                             // 000000014CAC: 0AFD9D7E
	v_mul_f32_e32 v127, v127, v207                             // 000000014CB0: 0AFF9F7F
	v_mul_f32_e64 v4, -v128, s6                                // 000000014CB4: D1050004 20000D80
	v_mul_f32_e64 v5, -v129, s6                                // 000000014CBC: D1050005 20000D81
	v_mul_f32_e64 v6, -v130, s6                                // 000000014CC4: D1050006 20000D82
	v_mul_f32_e64 v7, -v131, s6                                // 000000014CCC: D1050007 20000D83
	v_exp_f32_e32 v4, v4                                       // 000000014CD4: 7E084104
	v_exp_f32_e32 v5, v5                                       // 000000014CD8: 7E0A4105
	v_exp_f32_e32 v6, v6                                       // 000000014CDC: 7E0C4106
	v_exp_f32_e32 v7, v7                                       // 000000014CE0: 7E0E4107
	v_add_f32_e64 v4, v4, 1.0                                  // 000000014CE4: D1010004 0001E504
	v_add_f32_e64 v5, v5, 1.0                                  // 000000014CEC: D1010005 0001E505
	v_add_f32_e64 v6, v6, 1.0                                  // 000000014CF4: D1010006 0001E506
	v_add_f32_e64 v7, v7, 1.0                                  // 000000014CFC: D1010007 0001E507
	v_rcp_f32_e32 v4, v4                                       // 000000014D04: 7E084504
	v_rcp_f32_e32 v5, v5                                       // 000000014D08: 7E0A4505
	v_rcp_f32_e32 v6, v6                                       // 000000014D0C: 7E0C4506
	v_rcp_f32_e32 v7, v7                                       // 000000014D10: 7E0E4507
	v_mul_f32_e32 v128, v128, v4                               // 000000014D14: 0B000980
	v_mul_f32_e32 v129, v129, v5                               // 000000014D18: 0B020B81
	v_mul_f32_e32 v130, v130, v6                               // 000000014D1C: 0B040D82
	v_mul_f32_e32 v131, v131, v7                               // 000000014D20: 0B060F83
	v_mul_f32_e32 v128, v128, v208                             // 000000014D24: 0B01A180
	v_mul_f32_e32 v129, v129, v209                             // 000000014D28: 0B03A381
	v_mul_f32_e32 v130, v130, v210                             // 000000014D2C: 0B05A582
	v_mul_f32_e32 v131, v131, v211                             // 000000014D30: 0B07A783
	v_mul_f32_e64 v4, -v132, s6                                // 000000014D34: D1050004 20000D84
	v_mul_f32_e64 v5, -v133, s6                                // 000000014D3C: D1050005 20000D85
	v_mul_f32_e64 v6, -v134, s6                                // 000000014D44: D1050006 20000D86
	v_mul_f32_e64 v7, -v135, s6                                // 000000014D4C: D1050007 20000D87
	v_exp_f32_e32 v4, v4                                       // 000000014D54: 7E084104
	v_exp_f32_e32 v5, v5                                       // 000000014D58: 7E0A4105
	v_exp_f32_e32 v6, v6                                       // 000000014D5C: 7E0C4106
	v_exp_f32_e32 v7, v7                                       // 000000014D60: 7E0E4107
	v_add_f32_e64 v4, v4, 1.0                                  // 000000014D64: D1010004 0001E504
	v_add_f32_e64 v5, v5, 1.0                                  // 000000014D6C: D1010005 0001E505
	v_add_f32_e64 v6, v6, 1.0                                  // 000000014D74: D1010006 0001E506
	v_add_f32_e64 v7, v7, 1.0                                  // 000000014D7C: D1010007 0001E507
	v_rcp_f32_e32 v4, v4                                       // 000000014D84: 7E084504
	v_rcp_f32_e32 v5, v5                                       // 000000014D88: 7E0A4505
	v_rcp_f32_e32 v6, v6                                       // 000000014D8C: 7E0C4506
	v_rcp_f32_e32 v7, v7                                       // 000000014D90: 7E0E4507
	v_mul_f32_e32 v132, v132, v4                               // 000000014D94: 0B080984
	v_mul_f32_e32 v133, v133, v5                               // 000000014D98: 0B0A0B85
	v_mul_f32_e32 v134, v134, v6                               // 000000014D9C: 0B0C0D86
	v_mul_f32_e32 v135, v135, v7                               // 000000014DA0: 0B0E0F87
	v_mul_f32_e32 v132, v132, v212                             // 000000014DA4: 0B09A984
	v_mul_f32_e32 v133, v133, v213                             // 000000014DA8: 0B0BAB85
	v_mul_f32_e32 v134, v134, v214                             // 000000014DAC: 0B0DAD86
	v_mul_f32_e32 v135, v135, v215                             // 000000014DB0: 0B0FAF87
	v_mul_f32_e64 v4, -v136, s6                                // 000000014DB4: D1050004 20000D88
	v_mul_f32_e64 v5, -v137, s6                                // 000000014DBC: D1050005 20000D89
	v_mul_f32_e64 v6, -v138, s6                                // 000000014DC4: D1050006 20000D8A
	v_mul_f32_e64 v7, -v139, s6                                // 000000014DCC: D1050007 20000D8B
	v_exp_f32_e32 v4, v4                                       // 000000014DD4: 7E084104
	v_exp_f32_e32 v5, v5                                       // 000000014DD8: 7E0A4105
	v_exp_f32_e32 v6, v6                                       // 000000014DDC: 7E0C4106
	v_exp_f32_e32 v7, v7                                       // 000000014DE0: 7E0E4107
	v_add_f32_e64 v4, v4, 1.0                                  // 000000014DE4: D1010004 0001E504
	v_add_f32_e64 v5, v5, 1.0                                  // 000000014DEC: D1010005 0001E505
	v_add_f32_e64 v6, v6, 1.0                                  // 000000014DF4: D1010006 0001E506
	v_add_f32_e64 v7, v7, 1.0                                  // 000000014DFC: D1010007 0001E507
	v_rcp_f32_e32 v4, v4                                       // 000000014E04: 7E084504
	v_rcp_f32_e32 v5, v5                                       // 000000014E08: 7E0A4505
	v_rcp_f32_e32 v6, v6                                       // 000000014E0C: 7E0C4506
	v_rcp_f32_e32 v7, v7                                       // 000000014E10: 7E0E4507
	v_mul_f32_e32 v136, v136, v4                               // 000000014E14: 0B100988
	v_mul_f32_e32 v137, v137, v5                               // 000000014E18: 0B120B89
	v_mul_f32_e32 v138, v138, v6                               // 000000014E1C: 0B140D8A
	v_mul_f32_e32 v139, v139, v7                               // 000000014E20: 0B160F8B
	v_mul_f32_e32 v136, v136, v216                             // 000000014E24: 0B11B188
	v_mul_f32_e32 v137, v137, v217                             // 000000014E28: 0B13B389
	v_mul_f32_e32 v138, v138, v218                             // 000000014E2C: 0B15B58A
	v_mul_f32_e32 v139, v139, v219                             // 000000014E30: 0B17B78B
	v_mul_f32_e64 v4, -v140, s6                                // 000000014E34: D1050004 20000D8C
	v_mul_f32_e64 v5, -v141, s6                                // 000000014E3C: D1050005 20000D8D
	v_mul_f32_e64 v6, -v142, s6                                // 000000014E44: D1050006 20000D8E
	v_mul_f32_e64 v7, -v143, s6                                // 000000014E4C: D1050007 20000D8F
	v_exp_f32_e32 v4, v4                                       // 000000014E54: 7E084104
	v_exp_f32_e32 v5, v5                                       // 000000014E58: 7E0A4105
	v_exp_f32_e32 v6, v6                                       // 000000014E5C: 7E0C4106
	v_exp_f32_e32 v7, v7                                       // 000000014E60: 7E0E4107
	v_add_f32_e64 v4, v4, 1.0                                  // 000000014E64: D1010004 0001E504
	v_add_f32_e64 v5, v5, 1.0                                  // 000000014E6C: D1010005 0001E505
	v_add_f32_e64 v6, v6, 1.0                                  // 000000014E74: D1010006 0001E506
	v_add_f32_e64 v7, v7, 1.0                                  // 000000014E7C: D1010007 0001E507
	v_rcp_f32_e32 v4, v4                                       // 000000014E84: 7E084504
	v_rcp_f32_e32 v5, v5                                       // 000000014E88: 7E0A4505
	v_rcp_f32_e32 v6, v6                                       // 000000014E8C: 7E0C4506
	v_rcp_f32_e32 v7, v7                                       // 000000014E90: 7E0E4507
	v_mul_f32_e32 v140, v140, v4                               // 000000014E94: 0B18098C
	v_mul_f32_e32 v141, v141, v5                               // 000000014E98: 0B1A0B8D
	v_mul_f32_e32 v142, v142, v6                               // 000000014E9C: 0B1C0D8E
	v_mul_f32_e32 v143, v143, v7                               // 000000014EA0: 0B1E0F8F
	v_mul_f32_e32 v140, v140, v220                             // 000000014EA4: 0B19B98C
	v_mul_f32_e32 v141, v141, v221                             // 000000014EA8: 0B1BBB8D
	v_mul_f32_e32 v142, v142, v222                             // 000000014EAC: 0B1DBD8E
	v_mul_f32_e32 v143, v143, v223                             // 000000014EB0: 0B1FBF8F
	v_mul_f32_e64 v4, -v144, s6                                // 000000014EB4: D1050004 20000D90
	v_mul_f32_e64 v5, -v145, s6                                // 000000014EBC: D1050005 20000D91
	v_mul_f32_e64 v6, -v146, s6                                // 000000014EC4: D1050006 20000D92
	v_mul_f32_e64 v7, -v147, s6                                // 000000014ECC: D1050007 20000D93
	v_exp_f32_e32 v4, v4                                       // 000000014ED4: 7E084104
	v_exp_f32_e32 v5, v5                                       // 000000014ED8: 7E0A4105
	v_exp_f32_e32 v6, v6                                       // 000000014EDC: 7E0C4106
	v_exp_f32_e32 v7, v7                                       // 000000014EE0: 7E0E4107
	v_add_f32_e64 v4, v4, 1.0                                  // 000000014EE4: D1010004 0001E504
	v_add_f32_e64 v5, v5, 1.0                                  // 000000014EEC: D1010005 0001E505
	v_add_f32_e64 v6, v6, 1.0                                  // 000000014EF4: D1010006 0001E506
	v_add_f32_e64 v7, v7, 1.0                                  // 000000014EFC: D1010007 0001E507
	v_rcp_f32_e32 v4, v4                                       // 000000014F04: 7E084504
	v_rcp_f32_e32 v5, v5                                       // 000000014F08: 7E0A4505
	v_rcp_f32_e32 v6, v6                                       // 000000014F0C: 7E0C4506
	v_rcp_f32_e32 v7, v7                                       // 000000014F10: 7E0E4507
	v_mul_f32_e32 v144, v144, v4                               // 000000014F14: 0B200990
	v_mul_f32_e32 v145, v145, v5                               // 000000014F18: 0B220B91
	v_mul_f32_e32 v146, v146, v6                               // 000000014F1C: 0B240D92
	v_mul_f32_e32 v147, v147, v7                               // 000000014F20: 0B260F93
	v_mul_f32_e32 v144, v144, v224                             // 000000014F24: 0B21C190
	v_mul_f32_e32 v145, v145, v225                             // 000000014F28: 0B23C391
	v_mul_f32_e32 v146, v146, v226                             // 000000014F2C: 0B25C592
	v_mul_f32_e32 v147, v147, v227                             // 000000014F30: 0B27C793
	v_mul_f32_e64 v4, -v148, s6                                // 000000014F34: D1050004 20000D94
	v_mul_f32_e64 v5, -v149, s6                                // 000000014F3C: D1050005 20000D95
	v_mul_f32_e64 v6, -v150, s6                                // 000000014F44: D1050006 20000D96
	v_mul_f32_e64 v7, -v151, s6                                // 000000014F4C: D1050007 20000D97
	v_exp_f32_e32 v4, v4                                       // 000000014F54: 7E084104
	v_exp_f32_e32 v5, v5                                       // 000000014F58: 7E0A4105
	v_exp_f32_e32 v6, v6                                       // 000000014F5C: 7E0C4106
	v_exp_f32_e32 v7, v7                                       // 000000014F60: 7E0E4107
	v_add_f32_e64 v4, v4, 1.0                                  // 000000014F64: D1010004 0001E504
	v_add_f32_e64 v5, v5, 1.0                                  // 000000014F6C: D1010005 0001E505
	v_add_f32_e64 v6, v6, 1.0                                  // 000000014F74: D1010006 0001E506
	v_add_f32_e64 v7, v7, 1.0                                  // 000000014F7C: D1010007 0001E507
	v_rcp_f32_e32 v4, v4                                       // 000000014F84: 7E084504
	v_rcp_f32_e32 v5, v5                                       // 000000014F88: 7E0A4505
	v_rcp_f32_e32 v6, v6                                       // 000000014F8C: 7E0C4506
	v_rcp_f32_e32 v7, v7                                       // 000000014F90: 7E0E4507
	v_mul_f32_e32 v148, v148, v4                               // 000000014F94: 0B280994
	v_mul_f32_e32 v149, v149, v5                               // 000000014F98: 0B2A0B95
	v_mul_f32_e32 v150, v150, v6                               // 000000014F9C: 0B2C0D96
	v_mul_f32_e32 v151, v151, v7                               // 000000014FA0: 0B2E0F97
	v_mul_f32_e32 v148, v148, v228                             // 000000014FA4: 0B29C994
	v_mul_f32_e32 v149, v149, v229                             // 000000014FA8: 0B2BCB95
	v_mul_f32_e32 v150, v150, v230                             // 000000014FAC: 0B2DCD96
	v_mul_f32_e32 v151, v151, v231                             // 000000014FB0: 0B2FCF97
	v_mul_f32_e64 v4, -v152, s6                                // 000000014FB4: D1050004 20000D98
	v_mul_f32_e64 v5, -v153, s6                                // 000000014FBC: D1050005 20000D99
	v_mul_f32_e64 v6, -v154, s6                                // 000000014FC4: D1050006 20000D9A
	v_mul_f32_e64 v7, -v155, s6                                // 000000014FCC: D1050007 20000D9B
	v_exp_f32_e32 v4, v4                                       // 000000014FD4: 7E084104
	v_exp_f32_e32 v5, v5                                       // 000000014FD8: 7E0A4105
	v_exp_f32_e32 v6, v6                                       // 000000014FDC: 7E0C4106
	v_exp_f32_e32 v7, v7                                       // 000000014FE0: 7E0E4107
	v_add_f32_e64 v4, v4, 1.0                                  // 000000014FE4: D1010004 0001E504
	v_add_f32_e64 v5, v5, 1.0                                  // 000000014FEC: D1010005 0001E505
	v_add_f32_e64 v6, v6, 1.0                                  // 000000014FF4: D1010006 0001E506
	v_add_f32_e64 v7, v7, 1.0                                  // 000000014FFC: D1010007 0001E507
	v_rcp_f32_e32 v4, v4                                       // 000000015004: 7E084504
	v_rcp_f32_e32 v5, v5                                       // 000000015008: 7E0A4505
	v_rcp_f32_e32 v6, v6                                       // 00000001500C: 7E0C4506
	v_rcp_f32_e32 v7, v7                                       // 000000015010: 7E0E4507
	v_mul_f32_e32 v152, v152, v4                               // 000000015014: 0B300998
	v_mul_f32_e32 v153, v153, v5                               // 000000015018: 0B320B99
	v_mul_f32_e32 v154, v154, v6                               // 00000001501C: 0B340D9A
	v_mul_f32_e32 v155, v155, v7                               // 000000015020: 0B360F9B
	v_mul_f32_e32 v152, v152, v232                             // 000000015024: 0B31D198
	v_mul_f32_e32 v153, v153, v233                             // 000000015028: 0B33D399
	v_mul_f32_e32 v154, v154, v234                             // 00000001502C: 0B35D59A
	v_mul_f32_e32 v155, v155, v235                             // 000000015030: 0B37D79B
	v_mul_f32_e64 v4, -v156, s6                                // 000000015034: D1050004 20000D9C
	v_mul_f32_e64 v5, -v157, s6                                // 00000001503C: D1050005 20000D9D
	v_mul_f32_e64 v6, -v158, s6                                // 000000015044: D1050006 20000D9E
	v_mul_f32_e64 v7, -v159, s6                                // 00000001504C: D1050007 20000D9F
	v_exp_f32_e32 v4, v4                                       // 000000015054: 7E084104
	v_exp_f32_e32 v5, v5                                       // 000000015058: 7E0A4105
	v_exp_f32_e32 v6, v6                                       // 00000001505C: 7E0C4106
	v_exp_f32_e32 v7, v7                                       // 000000015060: 7E0E4107
	v_add_f32_e64 v4, v4, 1.0                                  // 000000015064: D1010004 0001E504
	v_add_f32_e64 v5, v5, 1.0                                  // 00000001506C: D1010005 0001E505
	v_add_f32_e64 v6, v6, 1.0                                  // 000000015074: D1010006 0001E506
	v_add_f32_e64 v7, v7, 1.0                                  // 00000001507C: D1010007 0001E507
	v_rcp_f32_e32 v4, v4                                       // 000000015084: 7E084504
	v_rcp_f32_e32 v5, v5                                       // 000000015088: 7E0A4505
	v_rcp_f32_e32 v6, v6                                       // 00000001508C: 7E0C4506
	v_rcp_f32_e32 v7, v7                                       // 000000015090: 7E0E4507
	v_mul_f32_e32 v156, v156, v4                               // 000000015094: 0B38099C
	v_mul_f32_e32 v157, v157, v5                               // 000000015098: 0B3A0B9D
	v_mul_f32_e32 v158, v158, v6                               // 00000001509C: 0B3C0D9E
	v_mul_f32_e32 v159, v159, v7                               // 0000000150A0: 0B3E0F9F
	v_mul_f32_e32 v156, v156, v236                             // 0000000150A4: 0B39D99C
	v_mul_f32_e32 v157, v157, v237                             // 0000000150A8: 0B3BDB9D
	v_mul_f32_e32 v158, v158, v238                             // 0000000150AC: 0B3DDD9E
	v_mul_f32_e32 v159, v159, v239                             // 0000000150B0: 0B3FDF9F
	v_mul_f32_e64 v4, -v160, s6                                // 0000000150B4: D1050004 20000DA0
	v_mul_f32_e64 v5, -v161, s6                                // 0000000150BC: D1050005 20000DA1
	v_mul_f32_e64 v6, -v162, s6                                // 0000000150C4: D1050006 20000DA2
	v_mul_f32_e64 v7, -v163, s6                                // 0000000150CC: D1050007 20000DA3
	v_exp_f32_e32 v4, v4                                       // 0000000150D4: 7E084104
	v_exp_f32_e32 v5, v5                                       // 0000000150D8: 7E0A4105
	v_exp_f32_e32 v6, v6                                       // 0000000150DC: 7E0C4106
	v_exp_f32_e32 v7, v7                                       // 0000000150E0: 7E0E4107
	v_add_f32_e64 v4, v4, 1.0                                  // 0000000150E4: D1010004 0001E504
	v_add_f32_e64 v5, v5, 1.0                                  // 0000000150EC: D1010005 0001E505
	v_add_f32_e64 v6, v6, 1.0                                  // 0000000150F4: D1010006 0001E506
	v_add_f32_e64 v7, v7, 1.0                                  // 0000000150FC: D1010007 0001E507
	v_rcp_f32_e32 v4, v4                                       // 000000015104: 7E084504
	v_rcp_f32_e32 v5, v5                                       // 000000015108: 7E0A4505
	v_rcp_f32_e32 v6, v6                                       // 00000001510C: 7E0C4506
	v_rcp_f32_e32 v7, v7                                       // 000000015110: 7E0E4507
	v_mul_f32_e32 v160, v160, v4                               // 000000015114: 0B4009A0
	v_mul_f32_e32 v161, v161, v5                               // 000000015118: 0B420BA1
	v_mul_f32_e32 v162, v162, v6                               // 00000001511C: 0B440DA2
	v_mul_f32_e32 v163, v163, v7                               // 000000015120: 0B460FA3
	v_mul_f32_e32 v160, v160, v240                             // 000000015124: 0B41E1A0
	v_mul_f32_e32 v161, v161, v241                             // 000000015128: 0B43E3A1
	v_mul_f32_e32 v162, v162, v242                             // 00000001512C: 0B45E5A2
	v_mul_f32_e32 v163, v163, v243                             // 000000015130: 0B47E7A3
	v_mul_f32_e64 v4, -v164, s6                                // 000000015134: D1050004 20000DA4
	v_mul_f32_e64 v5, -v165, s6                                // 00000001513C: D1050005 20000DA5
	v_mul_f32_e64 v6, -v166, s6                                // 000000015144: D1050006 20000DA6
	v_mul_f32_e64 v7, -v167, s6                                // 00000001514C: D1050007 20000DA7
	v_exp_f32_e32 v4, v4                                       // 000000015154: 7E084104
	v_exp_f32_e32 v5, v5                                       // 000000015158: 7E0A4105
	v_exp_f32_e32 v6, v6                                       // 00000001515C: 7E0C4106
	v_exp_f32_e32 v7, v7                                       // 000000015160: 7E0E4107
	v_add_f32_e64 v4, v4, 1.0                                  // 000000015164: D1010004 0001E504
	v_add_f32_e64 v5, v5, 1.0                                  // 00000001516C: D1010005 0001E505
	v_add_f32_e64 v6, v6, 1.0                                  // 000000015174: D1010006 0001E506
	v_add_f32_e64 v7, v7, 1.0                                  // 00000001517C: D1010007 0001E507
	v_rcp_f32_e32 v4, v4                                       // 000000015184: 7E084504
	v_rcp_f32_e32 v5, v5                                       // 000000015188: 7E0A4505
	v_rcp_f32_e32 v6, v6                                       // 00000001518C: 7E0C4506
	v_rcp_f32_e32 v7, v7                                       // 000000015190: 7E0E4507
	v_mul_f32_e32 v164, v164, v4                               // 000000015194: 0B4809A4
	v_mul_f32_e32 v165, v165, v5                               // 000000015198: 0B4A0BA5
	v_mul_f32_e32 v166, v166, v6                               // 00000001519C: 0B4C0DA6
	v_mul_f32_e32 v167, v167, v7                               // 0000000151A0: 0B4E0FA7
	v_mul_f32_e32 v164, v164, v244                             // 0000000151A4: 0B49E9A4
	v_mul_f32_e32 v165, v165, v245                             // 0000000151A8: 0B4BEBA5
	v_mul_f32_e32 v166, v166, v246                             // 0000000151AC: 0B4DEDA6
	v_mul_f32_e32 v167, v167, v247                             // 0000000151B0: 0B4FEFA7
	v_mul_f32_e64 v4, -v168, s6                                // 0000000151B4: D1050004 20000DA8
	v_mul_f32_e64 v5, -v169, s6                                // 0000000151BC: D1050005 20000DA9
	v_mul_f32_e64 v6, -v170, s6                                // 0000000151C4: D1050006 20000DAA
	v_mul_f32_e64 v7, -v171, s6                                // 0000000151CC: D1050007 20000DAB
	v_exp_f32_e32 v4, v4                                       // 0000000151D4: 7E084104
	v_exp_f32_e32 v5, v5                                       // 0000000151D8: 7E0A4105
	v_exp_f32_e32 v6, v6                                       // 0000000151DC: 7E0C4106
	v_exp_f32_e32 v7, v7                                       // 0000000151E0: 7E0E4107
	v_add_f32_e64 v4, v4, 1.0                                  // 0000000151E4: D1010004 0001E504
	v_add_f32_e64 v5, v5, 1.0                                  // 0000000151EC: D1010005 0001E505
	v_add_f32_e64 v6, v6, 1.0                                  // 0000000151F4: D1010006 0001E506
	v_add_f32_e64 v7, v7, 1.0                                  // 0000000151FC: D1010007 0001E507
	v_rcp_f32_e32 v4, v4                                       // 000000015204: 7E084504
	v_rcp_f32_e32 v5, v5                                       // 000000015208: 7E0A4505
	v_rcp_f32_e32 v6, v6                                       // 00000001520C: 7E0C4506
	v_rcp_f32_e32 v7, v7                                       // 000000015210: 7E0E4507
	v_mul_f32_e32 v168, v168, v4                               // 000000015214: 0B5009A8
	v_mul_f32_e32 v169, v169, v5                               // 000000015218: 0B520BA9
	v_mul_f32_e32 v170, v170, v6                               // 00000001521C: 0B540DAA
	v_mul_f32_e32 v171, v171, v7                               // 000000015220: 0B560FAB
	v_mul_f32_e32 v168, v168, v248                             // 000000015224: 0B51F1A8
	v_mul_f32_e32 v169, v169, v249                             // 000000015228: 0B53F3A9
	v_mul_f32_e32 v170, v170, v250                             // 00000001522C: 0B55F5AA
	v_mul_f32_e32 v171, v171, v251                             // 000000015230: 0B57F7AB

0000000000015234 <label_4A10>:
	s_cmp_eq_u32 s7, 0                                         // 000000015234: BF068007
	s_cbranch_scc0 label_4A32                                  // 000000015238: BF840020
	v_and_b32_e32 v4, 15, v0                                   // 00000001523C: 2608008F
	v_lshlrev_b32_e32 v4, 2, v4                                // 000000015240: 24080882
	buffer_load_dword v30, v4, s[12:15], 0 offen               // 000000015244: E0501000 80031E04
	v_add_u32_e32 v4, 64, v4                                   // 00000001524C: 680808C0
	buffer_load_dword v31, v4, s[12:15], 0 offen               // 000000015250: E0501000 80031F04
	v_add_u32_e32 v4, 64, v4                                   // 000000015258: 680808C0
	buffer_load_dword v32, v4, s[12:15], 0 offen               // 00000001525C: E0501000 80032004
	v_add_u32_e32 v4, 64, v4                                   // 000000015264: 680808C0
	buffer_load_dword v33, v4, s[12:15], 0 offen               // 000000015268: E0501000 80032104
	v_add_u32_e32 v4, 64, v4                                   // 000000015270: 680808C0
	buffer_load_dword v34, v4, s[12:15], 0 offen               // 000000015274: E0501000 80032204
	v_add_u32_e32 v4, 64, v4                                   // 00000001527C: 680808C0
	buffer_load_dword v35, v4, s[12:15], 0 offen               // 000000015280: E0501000 80032304
	v_add_u32_e32 v4, 64, v4                                   // 000000015288: 680808C0
	buffer_load_dword v36, v4, s[12:15], 0 offen               // 00000001528C: E0501000 80032404
	v_add_u32_e32 v4, 64, v4                                   // 000000015294: 680808C0
	buffer_load_dword v37, v4, s[12:15], 0 offen               // 000000015298: E0501000 80032504
	v_add_u32_e32 v4, 64, v4                                   // 0000000152A0: 680808C0
	buffer_load_dword v38, v4, s[12:15], 0 offen               // 0000000152A4: E0501000 80032604
	v_add_u32_e32 v4, 64, v4                                   // 0000000152AC: 680808C0
	buffer_load_dword v39, v4, s[12:15], 0 offen               // 0000000152B0: E0501000 80032704
	v_add_u32_e32 v4, 64, v4                                   // 0000000152B8: 680808C0

00000000000152bc <label_4A32>:
	v_lshlrev_b32_e32 v4, 2, v0                                // 0000000152BC: 24080082
	s_mul_i32 s60, 0x100, s7                                   // 0000000152C0: 923C07FF 00000100
	v_add_u32_e32 v182, s60, v4                                // 0000000152C8: 696C083C
	v_and_b32_e32 v4, 15, v0                                   // 0000000152CC: 2608008F
	v_lshlrev_b32_e32 v183, 2, v4                              // 0000000152D0: 256E0882
	s_waitcnt lgkmcnt(0)                                       // 0000000152D4: BF8CC07F
	s_barrier                                                  // 0000000152D8: BF8A0000
	v_mov_b32_e32 v172, 0x358637bd                             // 0000000152DC: 7F5802FF 358637BD
	v_max3_f32 v172, |v92|, |v93|, v172                        // 0000000152E4: D1D303AC 06B2BB5C
	v_max3_f32 v172, |v94|, |v95|, v172                        // 0000000152EC: D1D303AC 06B2BF5E
	v_max3_f32 v172, |v132|, |v133|, v172                      // 0000000152F4: D1D303AC 06B30B84
	v_max3_f32 v172, |v134|, |v135|, v172                      // 0000000152FC: D1D303AC 06B30F86
	ds_write_b32 v182, v172                                    // 000000015304: D81A0000 0000ACB6
	s_waitcnt lgkmcnt(0)                                       // 00000001530C: BF8CC07F
	s_barrier                                                  // 000000015310: BF8A0000
	ds_read_b32 v4, v183                                       // 000000015314: D86C0000 040000B7
	ds_read_b32 v5, v183 offset:64                             // 00000001531C: D86C0040 050000B7
	ds_read_b32 v6, v183 offset:128                            // 000000015324: D86C0080 060000B7
	ds_read_b32 v7, v183 offset:192                            // 00000001532C: D86C00C0 070000B7
	ds_read_b32 v8, v183 offset:256                            // 000000015334: D86C0100 080000B7
	ds_read_b32 v9, v183 offset:320                            // 00000001533C: D86C0140 090000B7
	ds_read_b32 v10, v183 offset:384                           // 000000015344: D86C0180 0A0000B7
	ds_read_b32 v11, v183 offset:448                           // 00000001534C: D86C01C0 0B0000B7
	ds_read_b32 v12, v183 offset:512                           // 000000015354: D86C0200 0C0000B7
	ds_read_b32 v13, v183 offset:576                           // 00000001535C: D86C0240 0D0000B7
	ds_read_b32 v14, v183 offset:640                           // 000000015364: D86C0280 0E0000B7
	ds_read_b32 v15, v183 offset:704                           // 00000001536C: D86C02C0 0F0000B7
	ds_read_b32 v16, v183 offset:768                           // 000000015374: D86C0300 100000B7
	ds_read_b32 v17, v183 offset:832                           // 00000001537C: D86C0340 110000B7
	ds_read_b32 v18, v183 offset:896                           // 000000015384: D86C0380 120000B7
	ds_read_b32 v19, v183 offset:960                           // 00000001538C: D86C03C0 130000B7
	s_waitcnt lgkmcnt(0)                                       // 000000015394: BF8CC07F
	s_barrier                                                  // 000000015398: BF8A0000
	v_max3_f32 v172, |v4|, |v5|, v172                          // 00000001539C: D1D303AC 06B20B04
	v_max3_f32 v172, |v6|, |v7|, v172                          // 0000000153A4: D1D303AC 06B20F06
	v_max3_f32 v172, |v8|, |v9|, v172                          // 0000000153AC: D1D303AC 06B21308
	v_max3_f32 v172, |v10|, |v11|, v172                        // 0000000153B4: D1D303AC 06B2170A
	v_max3_f32 v172, |v12|, |v13|, v172                        // 0000000153BC: D1D303AC 06B21B0C
	v_max3_f32 v172, |v14|, |v15|, v172                        // 0000000153C4: D1D303AC 06B21F0E
	v_max3_f32 v172, |v16|, |v17|, v172                        // 0000000153CC: D1D303AC 06B22310
	v_max3_f32 v172, |v18|, |v19|, v172                        // 0000000153D4: D1D303AC 06B22712
	v_rcp_f32_e32 v172, v172                                   // 0000000153DC: 7F5845AC
	v_mov_b32_e32 v4, 0x43700000                               // 0000000153E0: 7E0802FF 43700000
	v_mul_f32_e32 v172, v4, v172                               // 0000000153E8: 0B595904
	v_mov_b32_e32 v4, v172                                     // 0000000153EC: 7E0803AC
	v_mov_b32_e32 v5, v4                                       // 0000000153F0: 7E0A0304
	v_pk_mul_f32 v[92:93], v[4:5], v[92:93]                    // 0000000153F4: D3B1405C 1802B904
	v_pk_mul_f32 v[94:95], v[4:5], v[94:95]                    // 0000000153FC: D3B1405E 1802BD04
	v_cvt_pk_fp8_f32 v92, v92, v93                             // 000000015404: D2A2005C 0002BB5C
	v_cvt_pk_fp8_f32 v92, v94, v95 op_sel:[0,0,1]              // 00000001540C: D2A2405C 0002BF5E
	v_pk_mul_f32 v[132:133], v[4:5], v[132:133]                // 000000015414: D3B14084 18030904
	v_pk_mul_f32 v[134:135], v[4:5], v[134:135]                // 00000001541C: D3B14086 18030D04
	v_cvt_pk_fp8_f32 v132, v132, v133                          // 000000015424: D2A20084 00030B84
	v_cvt_pk_fp8_f32 v132, v134, v135 op_sel:[0,0,1]           // 00000001542C: D2A24084 00030F86
	v_rcp_f32_e32 v172, v172                                   // 000000015434: 7F5845AC
	v_mov_b32_e32 v173, 0x358637bd                             // 000000015438: 7F5A02FF 358637BD
	v_max3_f32 v173, |v96|, |v97|, v173                        // 000000015440: D1D303AD 06B6C360
	v_max3_f32 v173, |v98|, |v99|, v173                        // 000000015448: D1D303AD 06B6C762
	v_max3_f32 v173, |v136|, |v137|, v173                      // 000000015450: D1D303AD 06B71388
	v_max3_f32 v173, |v138|, |v139|, v173                      // 000000015458: D1D303AD 06B7178A
	ds_write_b32 v182, v173                                    // 000000015460: D81A0000 0000ADB6
	s_waitcnt lgkmcnt(0)                                       // 000000015468: BF8CC07F
	s_barrier                                                  // 00000001546C: BF8A0000
	ds_read_b32 v4, v183                                       // 000000015470: D86C0000 040000B7
	ds_read_b32 v5, v183 offset:64                             // 000000015478: D86C0040 050000B7
	ds_read_b32 v6, v183 offset:128                            // 000000015480: D86C0080 060000B7
	ds_read_b32 v7, v183 offset:192                            // 000000015488: D86C00C0 070000B7
	ds_read_b32 v8, v183 offset:256                            // 000000015490: D86C0100 080000B7
	ds_read_b32 v9, v183 offset:320                            // 000000015498: D86C0140 090000B7
	ds_read_b32 v10, v183 offset:384                           // 0000000154A0: D86C0180 0A0000B7
	ds_read_b32 v11, v183 offset:448                           // 0000000154A8: D86C01C0 0B0000B7
	ds_read_b32 v12, v183 offset:512                           // 0000000154B0: D86C0200 0C0000B7
	ds_read_b32 v13, v183 offset:576                           // 0000000154B8: D86C0240 0D0000B7
	ds_read_b32 v14, v183 offset:640                           // 0000000154C0: D86C0280 0E0000B7
	ds_read_b32 v15, v183 offset:704                           // 0000000154C8: D86C02C0 0F0000B7
	ds_read_b32 v16, v183 offset:768                           // 0000000154D0: D86C0300 100000B7
	ds_read_b32 v17, v183 offset:832                           // 0000000154D8: D86C0340 110000B7
	ds_read_b32 v18, v183 offset:896                           // 0000000154E0: D86C0380 120000B7
	ds_read_b32 v19, v183 offset:960                           // 0000000154E8: D86C03C0 130000B7
	s_waitcnt lgkmcnt(0)                                       // 0000000154F0: BF8CC07F
	s_barrier                                                  // 0000000154F4: BF8A0000
	v_max3_f32 v173, |v4|, |v5|, v173                          // 0000000154F8: D1D303AD 06B60B04
	v_max3_f32 v173, |v6|, |v7|, v173                          // 000000015500: D1D303AD 06B60F06
	v_max3_f32 v173, |v8|, |v9|, v173                          // 000000015508: D1D303AD 06B61308
	v_max3_f32 v173, |v10|, |v11|, v173                        // 000000015510: D1D303AD 06B6170A
	v_max3_f32 v173, |v12|, |v13|, v173                        // 000000015518: D1D303AD 06B61B0C
	v_max3_f32 v173, |v14|, |v15|, v173                        // 000000015520: D1D303AD 06B61F0E
	v_max3_f32 v173, |v16|, |v17|, v173                        // 000000015528: D1D303AD 06B62310
	v_max3_f32 v173, |v18|, |v19|, v173                        // 000000015530: D1D303AD 06B62712
	v_rcp_f32_e32 v173, v173                                   // 000000015538: 7F5A45AD
	v_mov_b32_e32 v4, 0x43700000                               // 00000001553C: 7E0802FF 43700000
	v_mul_f32_e32 v173, v4, v173                               // 000000015544: 0B5B5B04
	v_mov_b32_e32 v4, v173                                     // 000000015548: 7E0803AD
	v_mov_b32_e32 v5, v4                                       // 00000001554C: 7E0A0304
	v_pk_mul_f32 v[96:97], v[4:5], v[96:97]                    // 000000015550: D3B14060 1802C104
	v_pk_mul_f32 v[98:99], v[4:5], v[98:99]                    // 000000015558: D3B14062 1802C504
	v_cvt_pk_fp8_f32 v96, v96, v97                             // 000000015560: D2A20060 0002C360
	v_cvt_pk_fp8_f32 v96, v98, v99 op_sel:[0,0,1]              // 000000015568: D2A24060 0002C762
	v_pk_mul_f32 v[136:137], v[4:5], v[136:137]                // 000000015570: D3B14088 18031104
	v_pk_mul_f32 v[138:139], v[4:5], v[138:139]                // 000000015578: D3B1408A 18031504
	v_cvt_pk_fp8_f32 v136, v136, v137                          // 000000015580: D2A20088 00031388
	v_cvt_pk_fp8_f32 v136, v138, v139 op_sel:[0,0,1]           // 000000015588: D2A24088 0003178A
	v_rcp_f32_e32 v173, v173                                   // 000000015590: 7F5A45AD
	v_mov_b32_e32 v174, 0x358637bd                             // 000000015594: 7F5C02FF 358637BD
	v_max3_f32 v174, |v100|, |v101|, v174                      // 00000001559C: D1D303AE 06BACB64
	v_max3_f32 v174, |v102|, |v103|, v174                      // 0000000155A4: D1D303AE 06BACF66
	v_max3_f32 v174, |v140|, |v141|, v174                      // 0000000155AC: D1D303AE 06BB1B8C
	v_max3_f32 v174, |v142|, |v143|, v174                      // 0000000155B4: D1D303AE 06BB1F8E
	ds_write_b32 v182, v174                                    // 0000000155BC: D81A0000 0000AEB6
	s_waitcnt lgkmcnt(0)                                       // 0000000155C4: BF8CC07F
	s_barrier                                                  // 0000000155C8: BF8A0000
	ds_read_b32 v4, v183                                       // 0000000155CC: D86C0000 040000B7
	ds_read_b32 v5, v183 offset:64                             // 0000000155D4: D86C0040 050000B7
	ds_read_b32 v6, v183 offset:128                            // 0000000155DC: D86C0080 060000B7
	ds_read_b32 v7, v183 offset:192                            // 0000000155E4: D86C00C0 070000B7
	ds_read_b32 v8, v183 offset:256                            // 0000000155EC: D86C0100 080000B7
	ds_read_b32 v9, v183 offset:320                            // 0000000155F4: D86C0140 090000B7
	ds_read_b32 v10, v183 offset:384                           // 0000000155FC: D86C0180 0A0000B7
	ds_read_b32 v11, v183 offset:448                           // 000000015604: D86C01C0 0B0000B7
	ds_read_b32 v12, v183 offset:512                           // 00000001560C: D86C0200 0C0000B7
	ds_read_b32 v13, v183 offset:576                           // 000000015614: D86C0240 0D0000B7
	ds_read_b32 v14, v183 offset:640                           // 00000001561C: D86C0280 0E0000B7
	ds_read_b32 v15, v183 offset:704                           // 000000015624: D86C02C0 0F0000B7
	ds_read_b32 v16, v183 offset:768                           // 00000001562C: D86C0300 100000B7
	ds_read_b32 v17, v183 offset:832                           // 000000015634: D86C0340 110000B7
	ds_read_b32 v18, v183 offset:896                           // 00000001563C: D86C0380 120000B7
	ds_read_b32 v19, v183 offset:960                           // 000000015644: D86C03C0 130000B7
	s_waitcnt lgkmcnt(0)                                       // 00000001564C: BF8CC07F
	s_barrier                                                  // 000000015650: BF8A0000
	v_max3_f32 v174, |v4|, |v5|, v174                          // 000000015654: D1D303AE 06BA0B04
	v_max3_f32 v174, |v6|, |v7|, v174                          // 00000001565C: D1D303AE 06BA0F06
	v_max3_f32 v174, |v8|, |v9|, v174                          // 000000015664: D1D303AE 06BA1308
	v_max3_f32 v174, |v10|, |v11|, v174                        // 00000001566C: D1D303AE 06BA170A
	v_max3_f32 v174, |v12|, |v13|, v174                        // 000000015674: D1D303AE 06BA1B0C
	v_max3_f32 v174, |v14|, |v15|, v174                        // 00000001567C: D1D303AE 06BA1F0E
	v_max3_f32 v174, |v16|, |v17|, v174                        // 000000015684: D1D303AE 06BA2310
	v_max3_f32 v174, |v18|, |v19|, v174                        // 00000001568C: D1D303AE 06BA2712
	v_rcp_f32_e32 v174, v174                                   // 000000015694: 7F5C45AE
	v_mov_b32_e32 v4, 0x43700000                               // 000000015698: 7E0802FF 43700000
	v_mul_f32_e32 v174, v4, v174                               // 0000000156A0: 0B5D5D04
	v_mov_b32_e32 v4, v174                                     // 0000000156A4: 7E0803AE
	v_mov_b32_e32 v5, v4                                       // 0000000156A8: 7E0A0304
	v_pk_mul_f32 v[100:101], v[4:5], v[100:101]                // 0000000156AC: D3B14064 1802C904
	v_pk_mul_f32 v[102:103], v[4:5], v[102:103]                // 0000000156B4: D3B14066 1802CD04
	v_cvt_pk_fp8_f32 v100, v100, v101                          // 0000000156BC: D2A20064 0002CB64
	v_cvt_pk_fp8_f32 v100, v102, v103 op_sel:[0,0,1]           // 0000000156C4: D2A24064 0002CF66
	v_pk_mul_f32 v[140:141], v[4:5], v[140:141]                // 0000000156CC: D3B1408C 18031904
	v_pk_mul_f32 v[142:143], v[4:5], v[142:143]                // 0000000156D4: D3B1408E 18031D04
	v_cvt_pk_fp8_f32 v140, v140, v141                          // 0000000156DC: D2A2008C 00031B8C
	v_cvt_pk_fp8_f32 v140, v142, v143 op_sel:[0,0,1]           // 0000000156E4: D2A2408C 00031F8E
	v_rcp_f32_e32 v174, v174                                   // 0000000156EC: 7F5C45AE
	v_mov_b32_e32 v175, 0x358637bd                             // 0000000156F0: 7F5E02FF 358637BD
	v_max3_f32 v175, |v104|, |v105|, v175                      // 0000000156F8: D1D303AF 06BED368
	v_max3_f32 v175, |v106|, |v107|, v175                      // 000000015700: D1D303AF 06BED76A
	v_max3_f32 v175, |v144|, |v145|, v175                      // 000000015708: D1D303AF 06BF2390
	v_max3_f32 v175, |v146|, |v147|, v175                      // 000000015710: D1D303AF 06BF2792
	ds_write_b32 v182, v175                                    // 000000015718: D81A0000 0000AFB6
	s_waitcnt lgkmcnt(0)                                       // 000000015720: BF8CC07F
	s_barrier                                                  // 000000015724: BF8A0000
	ds_read_b32 v4, v183                                       // 000000015728: D86C0000 040000B7
	ds_read_b32 v5, v183 offset:64                             // 000000015730: D86C0040 050000B7
	ds_read_b32 v6, v183 offset:128                            // 000000015738: D86C0080 060000B7
	ds_read_b32 v7, v183 offset:192                            // 000000015740: D86C00C0 070000B7
	ds_read_b32 v8, v183 offset:256                            // 000000015748: D86C0100 080000B7
	ds_read_b32 v9, v183 offset:320                            // 000000015750: D86C0140 090000B7
	ds_read_b32 v10, v183 offset:384                           // 000000015758: D86C0180 0A0000B7
	ds_read_b32 v11, v183 offset:448                           // 000000015760: D86C01C0 0B0000B7
	ds_read_b32 v12, v183 offset:512                           // 000000015768: D86C0200 0C0000B7
	ds_read_b32 v13, v183 offset:576                           // 000000015770: D86C0240 0D0000B7
	ds_read_b32 v14, v183 offset:640                           // 000000015778: D86C0280 0E0000B7
	ds_read_b32 v15, v183 offset:704                           // 000000015780: D86C02C0 0F0000B7
	ds_read_b32 v16, v183 offset:768                           // 000000015788: D86C0300 100000B7
	ds_read_b32 v17, v183 offset:832                           // 000000015790: D86C0340 110000B7
	ds_read_b32 v18, v183 offset:896                           // 000000015798: D86C0380 120000B7
	ds_read_b32 v19, v183 offset:960                           // 0000000157A0: D86C03C0 130000B7
	s_waitcnt lgkmcnt(0)                                       // 0000000157A8: BF8CC07F
	s_barrier                                                  // 0000000157AC: BF8A0000
	v_max3_f32 v175, |v4|, |v5|, v175                          // 0000000157B0: D1D303AF 06BE0B04
	v_max3_f32 v175, |v6|, |v7|, v175                          // 0000000157B8: D1D303AF 06BE0F06
	v_max3_f32 v175, |v8|, |v9|, v175                          // 0000000157C0: D1D303AF 06BE1308
	v_max3_f32 v175, |v10|, |v11|, v175                        // 0000000157C8: D1D303AF 06BE170A
	v_max3_f32 v175, |v12|, |v13|, v175                        // 0000000157D0: D1D303AF 06BE1B0C
	v_max3_f32 v175, |v14|, |v15|, v175                        // 0000000157D8: D1D303AF 06BE1F0E
	v_max3_f32 v175, |v16|, |v17|, v175                        // 0000000157E0: D1D303AF 06BE2310
	v_max3_f32 v175, |v18|, |v19|, v175                        // 0000000157E8: D1D303AF 06BE2712
	v_rcp_f32_e32 v175, v175                                   // 0000000157F0: 7F5E45AF
	v_mov_b32_e32 v4, 0x43700000                               // 0000000157F4: 7E0802FF 43700000
	v_mul_f32_e32 v175, v4, v175                               // 0000000157FC: 0B5F5F04
	v_mov_b32_e32 v4, v175                                     // 000000015800: 7E0803AF
	v_mov_b32_e32 v5, v4                                       // 000000015804: 7E0A0304
	v_pk_mul_f32 v[104:105], v[4:5], v[104:105]                // 000000015808: D3B14068 1802D104
	v_pk_mul_f32 v[106:107], v[4:5], v[106:107]                // 000000015810: D3B1406A 1802D504
	v_cvt_pk_fp8_f32 v104, v104, v105                          // 000000015818: D2A20068 0002D368
	v_cvt_pk_fp8_f32 v104, v106, v107 op_sel:[0,0,1]           // 000000015820: D2A24068 0002D76A
	v_pk_mul_f32 v[144:145], v[4:5], v[144:145]                // 000000015828: D3B14090 18032104
	v_pk_mul_f32 v[146:147], v[4:5], v[146:147]                // 000000015830: D3B14092 18032504
	v_cvt_pk_fp8_f32 v144, v144, v145                          // 000000015838: D2A20090 00032390
	v_cvt_pk_fp8_f32 v144, v146, v147 op_sel:[0,0,1]           // 000000015840: D2A24090 00032792
	v_rcp_f32_e32 v175, v175                                   // 000000015848: 7F5E45AF
	v_mov_b32_e32 v176, 0x358637bd                             // 00000001584C: 7F6002FF 358637BD
	v_max3_f32 v176, |v108|, |v109|, v176                      // 000000015854: D1D303B0 06C2DB6C
	v_max3_f32 v176, |v110|, |v111|, v176                      // 00000001585C: D1D303B0 06C2DF6E
	v_max3_f32 v176, |v148|, |v149|, v176                      // 000000015864: D1D303B0 06C32B94
	v_max3_f32 v176, |v150|, |v151|, v176                      // 00000001586C: D1D303B0 06C32F96
	ds_write_b32 v182, v176                                    // 000000015874: D81A0000 0000B0B6
	s_waitcnt lgkmcnt(0)                                       // 00000001587C: BF8CC07F
	s_barrier                                                  // 000000015880: BF8A0000
	ds_read_b32 v4, v183                                       // 000000015884: D86C0000 040000B7
	ds_read_b32 v5, v183 offset:64                             // 00000001588C: D86C0040 050000B7
	ds_read_b32 v6, v183 offset:128                            // 000000015894: D86C0080 060000B7
	ds_read_b32 v7, v183 offset:192                            // 00000001589C: D86C00C0 070000B7
	ds_read_b32 v8, v183 offset:256                            // 0000000158A4: D86C0100 080000B7
	ds_read_b32 v9, v183 offset:320                            // 0000000158AC: D86C0140 090000B7
	ds_read_b32 v10, v183 offset:384                           // 0000000158B4: D86C0180 0A0000B7
	ds_read_b32 v11, v183 offset:448                           // 0000000158BC: D86C01C0 0B0000B7
	ds_read_b32 v12, v183 offset:512                           // 0000000158C4: D86C0200 0C0000B7
	ds_read_b32 v13, v183 offset:576                           // 0000000158CC: D86C0240 0D0000B7
	ds_read_b32 v14, v183 offset:640                           // 0000000158D4: D86C0280 0E0000B7
	ds_read_b32 v15, v183 offset:704                           // 0000000158DC: D86C02C0 0F0000B7
	ds_read_b32 v16, v183 offset:768                           // 0000000158E4: D86C0300 100000B7
	ds_read_b32 v17, v183 offset:832                           // 0000000158EC: D86C0340 110000B7
	ds_read_b32 v18, v183 offset:896                           // 0000000158F4: D86C0380 120000B7
	ds_read_b32 v19, v183 offset:960                           // 0000000158FC: D86C03C0 130000B7
	s_waitcnt lgkmcnt(0)                                       // 000000015904: BF8CC07F
	s_barrier                                                  // 000000015908: BF8A0000
	v_max3_f32 v176, |v4|, |v5|, v176                          // 00000001590C: D1D303B0 06C20B04
	v_max3_f32 v176, |v6|, |v7|, v176                          // 000000015914: D1D303B0 06C20F06
	v_max3_f32 v176, |v8|, |v9|, v176                          // 00000001591C: D1D303B0 06C21308
	v_max3_f32 v176, |v10|, |v11|, v176                        // 000000015924: D1D303B0 06C2170A
	v_max3_f32 v176, |v12|, |v13|, v176                        // 00000001592C: D1D303B0 06C21B0C
	v_max3_f32 v176, |v14|, |v15|, v176                        // 000000015934: D1D303B0 06C21F0E
	v_max3_f32 v176, |v16|, |v17|, v176                        // 00000001593C: D1D303B0 06C22310
	v_max3_f32 v176, |v18|, |v19|, v176                        // 000000015944: D1D303B0 06C22712
	v_rcp_f32_e32 v176, v176                                   // 00000001594C: 7F6045B0
	v_mov_b32_e32 v4, 0x43700000                               // 000000015950: 7E0802FF 43700000
	v_mul_f32_e32 v176, v4, v176                               // 000000015958: 0B616104
	v_mov_b32_e32 v4, v176                                     // 00000001595C: 7E0803B0
	v_mov_b32_e32 v5, v4                                       // 000000015960: 7E0A0304
	v_pk_mul_f32 v[108:109], v[4:5], v[108:109]                // 000000015964: D3B1406C 1802D904
	v_pk_mul_f32 v[110:111], v[4:5], v[110:111]                // 00000001596C: D3B1406E 1802DD04
	v_cvt_pk_fp8_f32 v108, v108, v109                          // 000000015974: D2A2006C 0002DB6C
	v_cvt_pk_fp8_f32 v108, v110, v111 op_sel:[0,0,1]           // 00000001597C: D2A2406C 0002DF6E
	v_pk_mul_f32 v[148:149], v[4:5], v[148:149]                // 000000015984: D3B14094 18032904
	v_pk_mul_f32 v[150:151], v[4:5], v[150:151]                // 00000001598C: D3B14096 18032D04
	v_cvt_pk_fp8_f32 v148, v148, v149                          // 000000015994: D2A20094 00032B94
	v_cvt_pk_fp8_f32 v148, v150, v151 op_sel:[0,0,1]           // 00000001599C: D2A24094 00032F96
	v_rcp_f32_e32 v176, v176                                   // 0000000159A4: 7F6045B0
	v_mov_b32_e32 v177, 0x358637bd                             // 0000000159A8: 7F6202FF 358637BD
	v_max3_f32 v177, |v112|, |v113|, v177                      // 0000000159B0: D1D303B1 06C6E370
	v_max3_f32 v177, |v114|, |v115|, v177                      // 0000000159B8: D1D303B1 06C6E772
	v_max3_f32 v177, |v152|, |v153|, v177                      // 0000000159C0: D1D303B1 06C73398
	v_max3_f32 v177, |v154|, |v155|, v177                      // 0000000159C8: D1D303B1 06C7379A
	ds_write_b32 v182, v177                                    // 0000000159D0: D81A0000 0000B1B6
	s_waitcnt lgkmcnt(0)                                       // 0000000159D8: BF8CC07F
	s_barrier                                                  // 0000000159DC: BF8A0000
	ds_read_b32 v4, v183                                       // 0000000159E0: D86C0000 040000B7
	ds_read_b32 v5, v183 offset:64                             // 0000000159E8: D86C0040 050000B7
	ds_read_b32 v6, v183 offset:128                            // 0000000159F0: D86C0080 060000B7
	ds_read_b32 v7, v183 offset:192                            // 0000000159F8: D86C00C0 070000B7
	ds_read_b32 v8, v183 offset:256                            // 000000015A00: D86C0100 080000B7
	ds_read_b32 v9, v183 offset:320                            // 000000015A08: D86C0140 090000B7
	ds_read_b32 v10, v183 offset:384                           // 000000015A10: D86C0180 0A0000B7
	ds_read_b32 v11, v183 offset:448                           // 000000015A18: D86C01C0 0B0000B7
	ds_read_b32 v12, v183 offset:512                           // 000000015A20: D86C0200 0C0000B7
	ds_read_b32 v13, v183 offset:576                           // 000000015A28: D86C0240 0D0000B7
	ds_read_b32 v14, v183 offset:640                           // 000000015A30: D86C0280 0E0000B7
	ds_read_b32 v15, v183 offset:704                           // 000000015A38: D86C02C0 0F0000B7
	ds_read_b32 v16, v183 offset:768                           // 000000015A40: D86C0300 100000B7
	ds_read_b32 v17, v183 offset:832                           // 000000015A48: D86C0340 110000B7
	ds_read_b32 v18, v183 offset:896                           // 000000015A50: D86C0380 120000B7
	ds_read_b32 v19, v183 offset:960                           // 000000015A58: D86C03C0 130000B7
	s_waitcnt lgkmcnt(0)                                       // 000000015A60: BF8CC07F
	s_barrier                                                  // 000000015A64: BF8A0000
	v_max3_f32 v177, |v4|, |v5|, v177                          // 000000015A68: D1D303B1 06C60B04
	v_max3_f32 v177, |v6|, |v7|, v177                          // 000000015A70: D1D303B1 06C60F06
	v_max3_f32 v177, |v8|, |v9|, v177                          // 000000015A78: D1D303B1 06C61308
	v_max3_f32 v177, |v10|, |v11|, v177                        // 000000015A80: D1D303B1 06C6170A
	v_max3_f32 v177, |v12|, |v13|, v177                        // 000000015A88: D1D303B1 06C61B0C
	v_max3_f32 v177, |v14|, |v15|, v177                        // 000000015A90: D1D303B1 06C61F0E
	v_max3_f32 v177, |v16|, |v17|, v177                        // 000000015A98: D1D303B1 06C62310
	v_max3_f32 v177, |v18|, |v19|, v177                        // 000000015AA0: D1D303B1 06C62712
	v_rcp_f32_e32 v177, v177                                   // 000000015AA8: 7F6245B1
	v_mov_b32_e32 v4, 0x43700000                               // 000000015AAC: 7E0802FF 43700000
	v_mul_f32_e32 v177, v4, v177                               // 000000015AB4: 0B636304
	v_mov_b32_e32 v4, v177                                     // 000000015AB8: 7E0803B1
	v_mov_b32_e32 v5, v4                                       // 000000015ABC: 7E0A0304
	v_pk_mul_f32 v[112:113], v[4:5], v[112:113]                // 000000015AC0: D3B14070 1802E104
	v_pk_mul_f32 v[114:115], v[4:5], v[114:115]                // 000000015AC8: D3B14072 1802E504
	v_cvt_pk_fp8_f32 v112, v112, v113                          // 000000015AD0: D2A20070 0002E370
	v_cvt_pk_fp8_f32 v112, v114, v115 op_sel:[0,0,1]           // 000000015AD8: D2A24070 0002E772
	v_pk_mul_f32 v[152:153], v[4:5], v[152:153]                // 000000015AE0: D3B14098 18033104
	v_pk_mul_f32 v[154:155], v[4:5], v[154:155]                // 000000015AE8: D3B1409A 18033504
	v_cvt_pk_fp8_f32 v152, v152, v153                          // 000000015AF0: D2A20098 00033398
	v_cvt_pk_fp8_f32 v152, v154, v155 op_sel:[0,0,1]           // 000000015AF8: D2A24098 0003379A
	v_rcp_f32_e32 v177, v177                                   // 000000015B00: 7F6245B1
	v_mov_b32_e32 v178, 0x358637bd                             // 000000015B04: 7F6402FF 358637BD
	v_max3_f32 v178, |v116|, |v117|, v178                      // 000000015B0C: D1D303B2 06CAEB74
	v_max3_f32 v178, |v118|, |v119|, v178                      // 000000015B14: D1D303B2 06CAEF76
	v_max3_f32 v178, |v156|, |v157|, v178                      // 000000015B1C: D1D303B2 06CB3B9C
	v_max3_f32 v178, |v158|, |v159|, v178                      // 000000015B24: D1D303B2 06CB3F9E
	ds_write_b32 v182, v178                                    // 000000015B2C: D81A0000 0000B2B6
	s_waitcnt lgkmcnt(0)                                       // 000000015B34: BF8CC07F
	s_barrier                                                  // 000000015B38: BF8A0000
	ds_read_b32 v4, v183                                       // 000000015B3C: D86C0000 040000B7
	ds_read_b32 v5, v183 offset:64                             // 000000015B44: D86C0040 050000B7
	ds_read_b32 v6, v183 offset:128                            // 000000015B4C: D86C0080 060000B7
	ds_read_b32 v7, v183 offset:192                            // 000000015B54: D86C00C0 070000B7
	ds_read_b32 v8, v183 offset:256                            // 000000015B5C: D86C0100 080000B7
	ds_read_b32 v9, v183 offset:320                            // 000000015B64: D86C0140 090000B7
	ds_read_b32 v10, v183 offset:384                           // 000000015B6C: D86C0180 0A0000B7
	ds_read_b32 v11, v183 offset:448                           // 000000015B74: D86C01C0 0B0000B7
	ds_read_b32 v12, v183 offset:512                           // 000000015B7C: D86C0200 0C0000B7
	ds_read_b32 v13, v183 offset:576                           // 000000015B84: D86C0240 0D0000B7
	ds_read_b32 v14, v183 offset:640                           // 000000015B8C: D86C0280 0E0000B7
	ds_read_b32 v15, v183 offset:704                           // 000000015B94: D86C02C0 0F0000B7
	ds_read_b32 v16, v183 offset:768                           // 000000015B9C: D86C0300 100000B7
	ds_read_b32 v17, v183 offset:832                           // 000000015BA4: D86C0340 110000B7
	ds_read_b32 v18, v183 offset:896                           // 000000015BAC: D86C0380 120000B7
	ds_read_b32 v19, v183 offset:960                           // 000000015BB4: D86C03C0 130000B7
	s_waitcnt lgkmcnt(0)                                       // 000000015BBC: BF8CC07F
	s_barrier                                                  // 000000015BC0: BF8A0000
	v_max3_f32 v178, |v4|, |v5|, v178                          // 000000015BC4: D1D303B2 06CA0B04
	v_max3_f32 v178, |v6|, |v7|, v178                          // 000000015BCC: D1D303B2 06CA0F06
	v_max3_f32 v178, |v8|, |v9|, v178                          // 000000015BD4: D1D303B2 06CA1308
	v_max3_f32 v178, |v10|, |v11|, v178                        // 000000015BDC: D1D303B2 06CA170A
	v_max3_f32 v178, |v12|, |v13|, v178                        // 000000015BE4: D1D303B2 06CA1B0C
	v_max3_f32 v178, |v14|, |v15|, v178                        // 000000015BEC: D1D303B2 06CA1F0E
	v_max3_f32 v178, |v16|, |v17|, v178                        // 000000015BF4: D1D303B2 06CA2310
	v_max3_f32 v178, |v18|, |v19|, v178                        // 000000015BFC: D1D303B2 06CA2712
	v_rcp_f32_e32 v178, v178                                   // 000000015C04: 7F6445B2
	v_mov_b32_e32 v4, 0x43700000                               // 000000015C08: 7E0802FF 43700000
	v_mul_f32_e32 v178, v4, v178                               // 000000015C10: 0B656504
	v_mov_b32_e32 v4, v178                                     // 000000015C14: 7E0803B2
	v_mov_b32_e32 v5, v4                                       // 000000015C18: 7E0A0304
	v_pk_mul_f32 v[116:117], v[4:5], v[116:117]                // 000000015C1C: D3B14074 1802E904
	v_pk_mul_f32 v[118:119], v[4:5], v[118:119]                // 000000015C24: D3B14076 1802ED04
	v_cvt_pk_fp8_f32 v116, v116, v117                          // 000000015C2C: D2A20074 0002EB74
	v_cvt_pk_fp8_f32 v116, v118, v119 op_sel:[0,0,1]           // 000000015C34: D2A24074 0002EF76
	v_pk_mul_f32 v[156:157], v[4:5], v[156:157]                // 000000015C3C: D3B1409C 18033904
	v_pk_mul_f32 v[158:159], v[4:5], v[158:159]                // 000000015C44: D3B1409E 18033D04
	v_cvt_pk_fp8_f32 v156, v156, v157                          // 000000015C4C: D2A2009C 00033B9C
	v_cvt_pk_fp8_f32 v156, v158, v159 op_sel:[0,0,1]           // 000000015C54: D2A2409C 00033F9E
	v_rcp_f32_e32 v178, v178                                   // 000000015C5C: 7F6445B2
	v_mov_b32_e32 v179, 0x358637bd                             // 000000015C60: 7F6602FF 358637BD
	v_max3_f32 v179, |v120|, |v121|, v179                      // 000000015C68: D1D303B3 06CEF378
	v_max3_f32 v179, |v122|, |v123|, v179                      // 000000015C70: D1D303B3 06CEF77A
	v_max3_f32 v179, |v160|, |v161|, v179                      // 000000015C78: D1D303B3 06CF43A0
	v_max3_f32 v179, |v162|, |v163|, v179                      // 000000015C80: D1D303B3 06CF47A2
	ds_write_b32 v182, v179                                    // 000000015C88: D81A0000 0000B3B6
	s_waitcnt lgkmcnt(0)                                       // 000000015C90: BF8CC07F
	s_barrier                                                  // 000000015C94: BF8A0000
	ds_read_b32 v4, v183                                       // 000000015C98: D86C0000 040000B7
	ds_read_b32 v5, v183 offset:64                             // 000000015CA0: D86C0040 050000B7
	ds_read_b32 v6, v183 offset:128                            // 000000015CA8: D86C0080 060000B7
	ds_read_b32 v7, v183 offset:192                            // 000000015CB0: D86C00C0 070000B7
	ds_read_b32 v8, v183 offset:256                            // 000000015CB8: D86C0100 080000B7
	ds_read_b32 v9, v183 offset:320                            // 000000015CC0: D86C0140 090000B7
	ds_read_b32 v10, v183 offset:384                           // 000000015CC8: D86C0180 0A0000B7
	ds_read_b32 v11, v183 offset:448                           // 000000015CD0: D86C01C0 0B0000B7
	ds_read_b32 v12, v183 offset:512                           // 000000015CD8: D86C0200 0C0000B7
	ds_read_b32 v13, v183 offset:576                           // 000000015CE0: D86C0240 0D0000B7
	ds_read_b32 v14, v183 offset:640                           // 000000015CE8: D86C0280 0E0000B7
	ds_read_b32 v15, v183 offset:704                           // 000000015CF0: D86C02C0 0F0000B7
	ds_read_b32 v16, v183 offset:768                           // 000000015CF8: D86C0300 100000B7
	ds_read_b32 v17, v183 offset:832                           // 000000015D00: D86C0340 110000B7
	ds_read_b32 v18, v183 offset:896                           // 000000015D08: D86C0380 120000B7
	ds_read_b32 v19, v183 offset:960                           // 000000015D10: D86C03C0 130000B7
	s_waitcnt lgkmcnt(0)                                       // 000000015D18: BF8CC07F
	s_barrier                                                  // 000000015D1C: BF8A0000
	v_max3_f32 v179, |v4|, |v5|, v179                          // 000000015D20: D1D303B3 06CE0B04
	v_max3_f32 v179, |v6|, |v7|, v179                          // 000000015D28: D1D303B3 06CE0F06
	v_max3_f32 v179, |v8|, |v9|, v179                          // 000000015D30: D1D303B3 06CE1308
	v_max3_f32 v179, |v10|, |v11|, v179                        // 000000015D38: D1D303B3 06CE170A
	v_max3_f32 v179, |v12|, |v13|, v179                        // 000000015D40: D1D303B3 06CE1B0C
	v_max3_f32 v179, |v14|, |v15|, v179                        // 000000015D48: D1D303B3 06CE1F0E
	v_max3_f32 v179, |v16|, |v17|, v179                        // 000000015D50: D1D303B3 06CE2310
	v_max3_f32 v179, |v18|, |v19|, v179                        // 000000015D58: D1D303B3 06CE2712
	v_rcp_f32_e32 v179, v179                                   // 000000015D60: 7F6645B3
	v_mov_b32_e32 v4, 0x43700000                               // 000000015D64: 7E0802FF 43700000
	v_mul_f32_e32 v179, v4, v179                               // 000000015D6C: 0B676704
	v_mov_b32_e32 v4, v179                                     // 000000015D70: 7E0803B3
	v_mov_b32_e32 v5, v4                                       // 000000015D74: 7E0A0304
	v_pk_mul_f32 v[120:121], v[4:5], v[120:121]                // 000000015D78: D3B14078 1802F104
	v_pk_mul_f32 v[122:123], v[4:5], v[122:123]                // 000000015D80: D3B1407A 1802F504
	v_cvt_pk_fp8_f32 v120, v120, v121                          // 000000015D88: D2A20078 0002F378
	v_cvt_pk_fp8_f32 v120, v122, v123 op_sel:[0,0,1]           // 000000015D90: D2A24078 0002F77A
	v_pk_mul_f32 v[160:161], v[4:5], v[160:161]                // 000000015D98: D3B140A0 18034104
	v_pk_mul_f32 v[162:163], v[4:5], v[162:163]                // 000000015DA0: D3B140A2 18034504
	v_cvt_pk_fp8_f32 v160, v160, v161                          // 000000015DA8: D2A200A0 000343A0
	v_cvt_pk_fp8_f32 v160, v162, v163 op_sel:[0,0,1]           // 000000015DB0: D2A240A0 000347A2
	v_rcp_f32_e32 v179, v179                                   // 000000015DB8: 7F6645B3
	v_mov_b32_e32 v180, 0x358637bd                             // 000000015DBC: 7F6802FF 358637BD
	v_max3_f32 v180, |v124|, |v125|, v180                      // 000000015DC4: D1D303B4 06D2FB7C
	v_max3_f32 v180, |v126|, |v127|, v180                      // 000000015DCC: D1D303B4 06D2FF7E
	v_max3_f32 v180, |v164|, |v165|, v180                      // 000000015DD4: D1D303B4 06D34BA4
	v_max3_f32 v180, |v166|, |v167|, v180                      // 000000015DDC: D1D303B4 06D34FA6
	ds_write_b32 v182, v180                                    // 000000015DE4: D81A0000 0000B4B6
	s_waitcnt lgkmcnt(0)                                       // 000000015DEC: BF8CC07F
	s_barrier                                                  // 000000015DF0: BF8A0000
	ds_read_b32 v4, v183                                       // 000000015DF4: D86C0000 040000B7
	ds_read_b32 v5, v183 offset:64                             // 000000015DFC: D86C0040 050000B7
	ds_read_b32 v6, v183 offset:128                            // 000000015E04: D86C0080 060000B7
	ds_read_b32 v7, v183 offset:192                            // 000000015E0C: D86C00C0 070000B7
	ds_read_b32 v8, v183 offset:256                            // 000000015E14: D86C0100 080000B7
	ds_read_b32 v9, v183 offset:320                            // 000000015E1C: D86C0140 090000B7
	ds_read_b32 v10, v183 offset:384                           // 000000015E24: D86C0180 0A0000B7
	ds_read_b32 v11, v183 offset:448                           // 000000015E2C: D86C01C0 0B0000B7
	ds_read_b32 v12, v183 offset:512                           // 000000015E34: D86C0200 0C0000B7
	ds_read_b32 v13, v183 offset:576                           // 000000015E3C: D86C0240 0D0000B7
	ds_read_b32 v14, v183 offset:640                           // 000000015E44: D86C0280 0E0000B7
	ds_read_b32 v15, v183 offset:704                           // 000000015E4C: D86C02C0 0F0000B7
	ds_read_b32 v16, v183 offset:768                           // 000000015E54: D86C0300 100000B7
	ds_read_b32 v17, v183 offset:832                           // 000000015E5C: D86C0340 110000B7
	ds_read_b32 v18, v183 offset:896                           // 000000015E64: D86C0380 120000B7
	ds_read_b32 v19, v183 offset:960                           // 000000015E6C: D86C03C0 130000B7
	s_waitcnt lgkmcnt(0)                                       // 000000015E74: BF8CC07F
	s_barrier                                                  // 000000015E78: BF8A0000
	v_max3_f32 v180, |v4|, |v5|, v180                          // 000000015E7C: D1D303B4 06D20B04
	v_max3_f32 v180, |v6|, |v7|, v180                          // 000000015E84: D1D303B4 06D20F06
	v_max3_f32 v180, |v8|, |v9|, v180                          // 000000015E8C: D1D303B4 06D21308
	v_max3_f32 v180, |v10|, |v11|, v180                        // 000000015E94: D1D303B4 06D2170A
	v_max3_f32 v180, |v12|, |v13|, v180                        // 000000015E9C: D1D303B4 06D21B0C
	v_max3_f32 v180, |v14|, |v15|, v180                        // 000000015EA4: D1D303B4 06D21F0E
	v_max3_f32 v180, |v16|, |v17|, v180                        // 000000015EAC: D1D303B4 06D22310
	v_max3_f32 v180, |v18|, |v19|, v180                        // 000000015EB4: D1D303B4 06D22712
	v_rcp_f32_e32 v180, v180                                   // 000000015EBC: 7F6845B4
	v_mov_b32_e32 v4, 0x43700000                               // 000000015EC0: 7E0802FF 43700000
	v_mul_f32_e32 v180, v4, v180                               // 000000015EC8: 0B696904
	v_mov_b32_e32 v4, v180                                     // 000000015ECC: 7E0803B4
	v_mov_b32_e32 v5, v4                                       // 000000015ED0: 7E0A0304
	v_pk_mul_f32 v[124:125], v[4:5], v[124:125]                // 000000015ED4: D3B1407C 1802F904
	v_pk_mul_f32 v[126:127], v[4:5], v[126:127]                // 000000015EDC: D3B1407E 1802FD04
	v_cvt_pk_fp8_f32 v124, v124, v125                          // 000000015EE4: D2A2007C 0002FB7C
	v_cvt_pk_fp8_f32 v124, v126, v127 op_sel:[0,0,1]           // 000000015EEC: D2A2407C 0002FF7E
	v_pk_mul_f32 v[164:165], v[4:5], v[164:165]                // 000000015EF4: D3B140A4 18034904
	v_pk_mul_f32 v[166:167], v[4:5], v[166:167]                // 000000015EFC: D3B140A6 18034D04
	v_cvt_pk_fp8_f32 v164, v164, v165                          // 000000015F04: D2A200A4 00034BA4
	v_cvt_pk_fp8_f32 v164, v166, v167 op_sel:[0,0,1]           // 000000015F0C: D2A240A4 00034FA6
	v_rcp_f32_e32 v180, v180                                   // 000000015F14: 7F6845B4
	v_mov_b32_e32 v181, 0x358637bd                             // 000000015F18: 7F6A02FF 358637BD
	v_max3_f32 v181, |v128|, |v129|, v181                      // 000000015F20: D1D303B5 06D70380
	v_max3_f32 v181, |v130|, |v131|, v181                      // 000000015F28: D1D303B5 06D70782
	v_max3_f32 v181, |v168|, |v169|, v181                      // 000000015F30: D1D303B5 06D753A8
	v_max3_f32 v181, |v170|, |v171|, v181                      // 000000015F38: D1D303B5 06D757AA
	ds_write_b32 v182, v181                                    // 000000015F40: D81A0000 0000B5B6
	s_waitcnt lgkmcnt(0)                                       // 000000015F48: BF8CC07F
	s_barrier                                                  // 000000015F4C: BF8A0000
	ds_read_b32 v4, v183                                       // 000000015F50: D86C0000 040000B7
	ds_read_b32 v5, v183 offset:64                             // 000000015F58: D86C0040 050000B7
	ds_read_b32 v6, v183 offset:128                            // 000000015F60: D86C0080 060000B7
	ds_read_b32 v7, v183 offset:192                            // 000000015F68: D86C00C0 070000B7
	ds_read_b32 v8, v183 offset:256                            // 000000015F70: D86C0100 080000B7
	ds_read_b32 v9, v183 offset:320                            // 000000015F78: D86C0140 090000B7
	ds_read_b32 v10, v183 offset:384                           // 000000015F80: D86C0180 0A0000B7
	ds_read_b32 v11, v183 offset:448                           // 000000015F88: D86C01C0 0B0000B7
	ds_read_b32 v12, v183 offset:512                           // 000000015F90: D86C0200 0C0000B7
	ds_read_b32 v13, v183 offset:576                           // 000000015F98: D86C0240 0D0000B7
	ds_read_b32 v14, v183 offset:640                           // 000000015FA0: D86C0280 0E0000B7
	ds_read_b32 v15, v183 offset:704                           // 000000015FA8: D86C02C0 0F0000B7
	ds_read_b32 v16, v183 offset:768                           // 000000015FB0: D86C0300 100000B7
	ds_read_b32 v17, v183 offset:832                           // 000000015FB8: D86C0340 110000B7
	ds_read_b32 v18, v183 offset:896                           // 000000015FC0: D86C0380 120000B7
	ds_read_b32 v19, v183 offset:960                           // 000000015FC8: D86C03C0 130000B7
	s_waitcnt lgkmcnt(0)                                       // 000000015FD0: BF8CC07F
	s_barrier                                                  // 000000015FD4: BF8A0000
	v_max3_f32 v181, |v4|, |v5|, v181                          // 000000015FD8: D1D303B5 06D60B04
	v_max3_f32 v181, |v6|, |v7|, v181                          // 000000015FE0: D1D303B5 06D60F06
	v_max3_f32 v181, |v8|, |v9|, v181                          // 000000015FE8: D1D303B5 06D61308
	v_max3_f32 v181, |v10|, |v11|, v181                        // 000000015FF0: D1D303B5 06D6170A
	v_max3_f32 v181, |v12|, |v13|, v181                        // 000000015FF8: D1D303B5 06D61B0C
	v_max3_f32 v181, |v14|, |v15|, v181                        // 000000016000: D1D303B5 06D61F0E
	v_max3_f32 v181, |v16|, |v17|, v181                        // 000000016008: D1D303B5 06D62310
	v_max3_f32 v181, |v18|, |v19|, v181                        // 000000016010: D1D303B5 06D62712
	v_rcp_f32_e32 v181, v181                                   // 000000016018: 7F6A45B5
	v_mov_b32_e32 v4, 0x43700000                               // 00000001601C: 7E0802FF 43700000
	v_mul_f32_e32 v181, v4, v181                               // 000000016024: 0B6B6B04
	v_mov_b32_e32 v4, v181                                     // 000000016028: 7E0803B5
	v_mov_b32_e32 v5, v4                                       // 00000001602C: 7E0A0304
	v_pk_mul_f32 v[128:129], v[4:5], v[128:129]                // 000000016030: D3B14080 18030104
	v_pk_mul_f32 v[130:131], v[4:5], v[130:131]                // 000000016038: D3B14082 18030504
	v_cvt_pk_fp8_f32 v128, v128, v129                          // 000000016040: D2A20080 00030380
	v_cvt_pk_fp8_f32 v128, v130, v131 op_sel:[0,0,1]           // 000000016048: D2A24080 00030782
	v_pk_mul_f32 v[168:169], v[4:5], v[168:169]                // 000000016050: D3B140A8 18035104
	v_pk_mul_f32 v[170:171], v[4:5], v[170:171]                // 000000016058: D3B140AA 18035504
	v_cvt_pk_fp8_f32 v168, v168, v169                          // 000000016060: D2A200A8 000353A8
	v_cvt_pk_fp8_f32 v168, v170, v171 op_sel:[0,0,1]           // 000000016068: D2A240A8 000357AA
	v_rcp_f32_e32 v181, v181                                   // 000000016070: 7F6A45B5
	v_lshrrev_b32_e32 v4, 5, v0                                // 000000016074: 20080085
	v_mul_lo_u32 v20, 34, v4                                   // 000000016078: D2850014 000208A2
	v_and_b32_e32 v4, 31, v0                                   // 000000016080: 2608009F
	v_lshrrev_b32_e32 v5, 4, v4                                // 000000016084: 200A0884
	v_add_u32_e32 v20, v5, v20                                 // 000000016088: 68282905
	v_and_b32_e32 v4, 15, v0                                   // 00000001608C: 2608008F
	v_mul_lo_u32 v5, 2, v4                                     // 000000016090: D2850005 00020882
	v_add_u32_e32 v20, v5, v20                                 // 000000016098: 68282905
	s_mul_i32 s60, s7, 0x44                                    // 00000001609C: 923CFF07 00000044
	v_add_u32_e32 v20, s60, v20                                // 0000000160A4: 6828283C
	v_lshlrev_b32_e32 v20, 2, v20                              // 0000000160A8: 24282882
	ds_write_b32 v20, v92                                      // 0000000160AC: D81A0000 00005C14
	ds_write_b32 v20, v96 offset:2176                          // 0000000160B4: D81A0880 00006014
	ds_write_b32 v20, v100 offset:4352                         // 0000000160BC: D81A1100 00006414
	ds_write_b32 v20, v104 offset:6528                         // 0000000160C4: D81A1980 00006814
	ds_write_b32 v20, v108 offset:8704                         // 0000000160CC: D81A2200 00006C14
	ds_write_b32 v20, v112 offset:10880                        // 0000000160D4: D81A2A80 00007014
	ds_write_b32 v20, v116 offset:13056                        // 0000000160DC: D81A3300 00007414
	ds_write_b32 v20, v120 offset:15232                        // 0000000160E4: D81A3B80 00007814
	ds_write_b32 v20, v124 offset:17408                        // 0000000160EC: D81A4400 00007C14
	ds_write_b32 v20, v128 offset:19584                        // 0000000160F4: D81A4C80 00008014
	ds_write_b32 v20, v132 offset:1088                         // 0000000160FC: D81A0440 00008414
	ds_write_b32 v20, v136 offset:3264                         // 000000016104: D81A0CC0 00008814
	ds_write_b32 v20, v140 offset:5440                         // 00000001610C: D81A1540 00008C14
	ds_write_b32 v20, v144 offset:7616                         // 000000016114: D81A1DC0 00009014
	ds_write_b32 v20, v148 offset:9792                         // 00000001611C: D81A2640 00009414
	ds_write_b32 v20, v152 offset:11968                        // 000000016124: D81A2EC0 00009814
	ds_write_b32 v20, v156 offset:14144                        // 00000001612C: D81A3740 00009C14
	ds_write_b32 v20, v160 offset:16320                        // 000000016134: D81A3FC0 0000A014
	ds_write_b32 v20, v164 offset:18496                        // 00000001613C: D81A4840 0000A414
	ds_write_b32 v20, v168 offset:20672                        // 000000016144: D81A50C0 0000A814
	v_lshrrev_b32_e32 v4, 5, v0                                // 00000001614C: 20080085
	v_xor_b32_e32 v5, 1, v4                                    // 000000016150: 2A0A0881
	s_mul_i32 s60, s65, 1                                      // 000000016154: 923C8141
	s_cmp_eq_u32 s88, 0                                        // 000000016158: BF068058
	s_cselect_b32 s61, 1, 8                                    // 00000001615C: 853D8881
	s_mul_i32 s60, s61, s60                                    // 000000016160: 923C3C3D
	v_readlane_b32 s82, v3, 0                                  // 000000016164: D2890052 00010103
	s_lshr_b32 s61, s82, 24                                    // 00000001616C: 8F3D9852
	s_and_b32 s82, s82, 0xffffff                               // 000000016170: 8652FF52 00FFFFFF
	s_mul_i32 s82, s82, s71                                    // 000000016178: 92524752
	s_mul_i32 s61, s60, s61                                    // 00000001617C: 923D3D3C
	s_add_u32 s82, s82, s61                                    // 000000016180: 80523D52
	v_mul_lo_u32 v6, v5, s82                                   // 000000016184: D2850006 0000A505
	v_readlane_b32 s82, v3, 1                                  // 00000001618C: D2890052 00010303
	s_lshr_b32 s61, s82, 24                                    // 000000016194: 8F3D9852
	s_and_b32 s82, s82, 0xffffff                               // 000000016198: 8652FF52 00FFFFFF
	s_mul_i32 s82, s82, s71                                    // 0000000161A0: 92524752
	s_mul_i32 s61, s60, s61                                    // 0000000161A4: 923D3D3C
	s_add_u32 s82, s82, s61                                    // 0000000161A8: 80523D52
	v_mul_lo_u32 v7, v4, s82                                   // 0000000161AC: D2850007 0000A504
	v_add_u32_e32 v70, v6, v7                                  // 0000000161B4: 688C0F06
	v_readlane_b32 s82, v3, 2                                  // 0000000161B8: D2890052 00010503
	s_lshr_b32 s61, s82, 24                                    // 0000000161C0: 8F3D9852
	s_and_b32 s82, s82, 0xffffff                               // 0000000161C4: 8652FF52 00FFFFFF
	s_mul_i32 s82, s82, s71                                    // 0000000161CC: 92524752
	s_mul_i32 s61, s60, s61                                    // 0000000161D0: 923D3D3C
	s_add_u32 s82, s82, s61                                    // 0000000161D4: 80523D52
	v_mul_lo_u32 v6, v5, s82                                   // 0000000161D8: D2850006 0000A505
	v_readlane_b32 s82, v3, 3                                  // 0000000161E0: D2890052 00010703
	s_lshr_b32 s61, s82, 24                                    // 0000000161E8: 8F3D9852
	s_and_b32 s82, s82, 0xffffff                               // 0000000161EC: 8652FF52 00FFFFFF
	s_mul_i32 s82, s82, s71                                    // 0000000161F4: 92524752
	s_mul_i32 s61, s60, s61                                    // 0000000161F8: 923D3D3C
	s_add_u32 s82, s82, s61                                    // 0000000161FC: 80523D52
	v_mul_lo_u32 v7, v4, s82                                   // 000000016200: D2850007 0000A504
	v_add_u32_e32 v71, v6, v7                                  // 000000016208: 688E0F06
	v_readlane_b32 s82, v3, 4                                  // 00000001620C: D2890052 00010903
	s_lshr_b32 s61, s82, 24                                    // 000000016214: 8F3D9852
	s_and_b32 s82, s82, 0xffffff                               // 000000016218: 8652FF52 00FFFFFF
	s_mul_i32 s82, s82, s71                                    // 000000016220: 92524752
	s_mul_i32 s61, s60, s61                                    // 000000016224: 923D3D3C
	s_add_u32 s82, s82, s61                                    // 000000016228: 80523D52
	v_mul_lo_u32 v6, v5, s82                                   // 00000001622C: D2850006 0000A505
	v_readlane_b32 s82, v3, 5                                  // 000000016234: D2890052 00010B03
	s_lshr_b32 s61, s82, 24                                    // 00000001623C: 8F3D9852
	s_and_b32 s82, s82, 0xffffff                               // 000000016240: 8652FF52 00FFFFFF
	s_mul_i32 s82, s82, s71                                    // 000000016248: 92524752
	s_mul_i32 s61, s60, s61                                    // 00000001624C: 923D3D3C
	s_add_u32 s82, s82, s61                                    // 000000016250: 80523D52
	v_mul_lo_u32 v7, v4, s82                                   // 000000016254: D2850007 0000A504
	v_add_u32_e32 v72, v6, v7                                  // 00000001625C: 68900F06
	v_readlane_b32 s82, v3, 6                                  // 000000016260: D2890052 00010D03
	s_lshr_b32 s61, s82, 24                                    // 000000016268: 8F3D9852
	s_and_b32 s82, s82, 0xffffff                               // 00000001626C: 8652FF52 00FFFFFF
	s_mul_i32 s82, s82, s71                                    // 000000016274: 92524752
	s_mul_i32 s61, s60, s61                                    // 000000016278: 923D3D3C
	s_add_u32 s82, s82, s61                                    // 00000001627C: 80523D52
	v_mul_lo_u32 v6, v5, s82                                   // 000000016280: D2850006 0000A505
	v_readlane_b32 s82, v3, 7                                  // 000000016288: D2890052 00010F03
	s_lshr_b32 s61, s82, 24                                    // 000000016290: 8F3D9852
	s_and_b32 s82, s82, 0xffffff                               // 000000016294: 8652FF52 00FFFFFF
	s_mul_i32 s82, s82, s71                                    // 00000001629C: 92524752
	s_mul_i32 s61, s60, s61                                    // 0000000162A0: 923D3D3C
	s_add_u32 s82, s82, s61                                    // 0000000162A4: 80523D52
	v_mul_lo_u32 v7, v4, s82                                   // 0000000162A8: D2850007 0000A504
	v_add_u32_e32 v73, v6, v7                                  // 0000000162B0: 68920F06
	v_readlane_b32 s82, v3, 8                                  // 0000000162B4: D2890052 00011103
	s_lshr_b32 s61, s82, 24                                    // 0000000162BC: 8F3D9852
	s_and_b32 s82, s82, 0xffffff                               // 0000000162C0: 8652FF52 00FFFFFF
	s_mul_i32 s82, s82, s71                                    // 0000000162C8: 92524752
	s_mul_i32 s61, s60, s61                                    // 0000000162CC: 923D3D3C
	s_add_u32 s82, s82, s61                                    // 0000000162D0: 80523D52
	v_mul_lo_u32 v6, v5, s82                                   // 0000000162D4: D2850006 0000A505
	v_readlane_b32 s82, v3, 9                                  // 0000000162DC: D2890052 00011303
	s_lshr_b32 s61, s82, 24                                    // 0000000162E4: 8F3D9852
	s_and_b32 s82, s82, 0xffffff                               // 0000000162E8: 8652FF52 00FFFFFF
	s_mul_i32 s82, s82, s71                                    // 0000000162F0: 92524752
	s_mul_i32 s61, s60, s61                                    // 0000000162F4: 923D3D3C
	s_add_u32 s82, s82, s61                                    // 0000000162F8: 80523D52
	v_mul_lo_u32 v7, v4, s82                                   // 0000000162FC: D2850007 0000A504
	v_add_u32_e32 v74, v6, v7                                  // 000000016304: 68940F06
	v_readlane_b32 s82, v3, 10                                 // 000000016308: D2890052 00011503
	s_lshr_b32 s61, s82, 24                                    // 000000016310: 8F3D9852
	s_and_b32 s82, s82, 0xffffff                               // 000000016314: 8652FF52 00FFFFFF
	s_mul_i32 s82, s82, s71                                    // 00000001631C: 92524752
	s_mul_i32 s61, s60, s61                                    // 000000016320: 923D3D3C
	s_add_u32 s82, s82, s61                                    // 000000016324: 80523D52
	v_mul_lo_u32 v6, v5, s82                                   // 000000016328: D2850006 0000A505
	v_readlane_b32 s82, v3, 11                                 // 000000016330: D2890052 00011703
	s_lshr_b32 s61, s82, 24                                    // 000000016338: 8F3D9852
	s_and_b32 s82, s82, 0xffffff                               // 00000001633C: 8652FF52 00FFFFFF
	s_mul_i32 s82, s82, s71                                    // 000000016344: 92524752
	s_mul_i32 s61, s60, s61                                    // 000000016348: 923D3D3C
	s_add_u32 s82, s82, s61                                    // 00000001634C: 80523D52
	v_mul_lo_u32 v7, v4, s82                                   // 000000016350: D2850007 0000A504
	v_add_u32_e32 v75, v6, v7                                  // 000000016358: 68960F06
	v_readlane_b32 s82, v3, 12                                 // 00000001635C: D2890052 00011903
	s_lshr_b32 s61, s82, 24                                    // 000000016364: 8F3D9852
	s_and_b32 s82, s82, 0xffffff                               // 000000016368: 8652FF52 00FFFFFF
	s_mul_i32 s82, s82, s71                                    // 000000016370: 92524752
	s_mul_i32 s61, s60, s61                                    // 000000016374: 923D3D3C
	s_add_u32 s82, s82, s61                                    // 000000016378: 80523D52
	v_mul_lo_u32 v6, v5, s82                                   // 00000001637C: D2850006 0000A505
	v_readlane_b32 s82, v3, 13                                 // 000000016384: D2890052 00011B03
	s_lshr_b32 s61, s82, 24                                    // 00000001638C: 8F3D9852
	s_and_b32 s82, s82, 0xffffff                               // 000000016390: 8652FF52 00FFFFFF
	s_mul_i32 s82, s82, s71                                    // 000000016398: 92524752
	s_mul_i32 s61, s60, s61                                    // 00000001639C: 923D3D3C
	s_add_u32 s82, s82, s61                                    // 0000000163A0: 80523D52
	v_mul_lo_u32 v7, v4, s82                                   // 0000000163A4: D2850007 0000A504
	v_add_u32_e32 v76, v6, v7                                  // 0000000163AC: 68980F06
	v_readlane_b32 s82, v3, 14                                 // 0000000163B0: D2890052 00011D03
	s_lshr_b32 s61, s82, 24                                    // 0000000163B8: 8F3D9852
	s_and_b32 s82, s82, 0xffffff                               // 0000000163BC: 8652FF52 00FFFFFF
	s_mul_i32 s82, s82, s71                                    // 0000000163C4: 92524752
	s_mul_i32 s61, s60, s61                                    // 0000000163C8: 923D3D3C
	s_add_u32 s82, s82, s61                                    // 0000000163CC: 80523D52
	v_mul_lo_u32 v6, v5, s82                                   // 0000000163D0: D2850006 0000A505
	v_readlane_b32 s82, v3, 15                                 // 0000000163D8: D2890052 00011F03
	s_lshr_b32 s61, s82, 24                                    // 0000000163E0: 8F3D9852
	s_and_b32 s82, s82, 0xffffff                               // 0000000163E4: 8652FF52 00FFFFFF
	s_mul_i32 s82, s82, s71                                    // 0000000163EC: 92524752
	s_mul_i32 s61, s60, s61                                    // 0000000163F0: 923D3D3C
	s_add_u32 s82, s82, s61                                    // 0000000163F4: 80523D52
	v_mul_lo_u32 v7, v4, s82                                   // 0000000163F8: D2850007 0000A504
	v_add_u32_e32 v77, v6, v7                                  // 000000016400: 689A0F06
	v_readlane_b32 s82, v3, 16                                 // 000000016404: D2890052 00012103
	s_lshr_b32 s61, s82, 24                                    // 00000001640C: 8F3D9852
	s_and_b32 s82, s82, 0xffffff                               // 000000016410: 8652FF52 00FFFFFF
	s_mul_i32 s82, s82, s71                                    // 000000016418: 92524752
	s_mul_i32 s61, s60, s61                                    // 00000001641C: 923D3D3C
	s_add_u32 s82, s82, s61                                    // 000000016420: 80523D52
	v_mul_lo_u32 v6, v5, s82                                   // 000000016424: D2850006 0000A505
	v_readlane_b32 s82, v3, 17                                 // 00000001642C: D2890052 00012303
	s_lshr_b32 s61, s82, 24                                    // 000000016434: 8F3D9852
	s_and_b32 s82, s82, 0xffffff                               // 000000016438: 8652FF52 00FFFFFF
	s_mul_i32 s82, s82, s71                                    // 000000016440: 92524752
	s_mul_i32 s61, s60, s61                                    // 000000016444: 923D3D3C
	s_add_u32 s82, s82, s61                                    // 000000016448: 80523D52
	v_mul_lo_u32 v7, v4, s82                                   // 00000001644C: D2850007 0000A504
	v_add_u32_e32 v78, v6, v7                                  // 000000016454: 689C0F06
	v_readlane_b32 s82, v3, 18                                 // 000000016458: D2890052 00012503
	s_lshr_b32 s61, s82, 24                                    // 000000016460: 8F3D9852
	s_and_b32 s82, s82, 0xffffff                               // 000000016464: 8652FF52 00FFFFFF
	s_mul_i32 s82, s82, s71                                    // 00000001646C: 92524752
	s_mul_i32 s61, s60, s61                                    // 000000016470: 923D3D3C
	s_add_u32 s82, s82, s61                                    // 000000016474: 80523D52
	v_mul_lo_u32 v6, v5, s82                                   // 000000016478: D2850006 0000A505
	v_readlane_b32 s82, v3, 19                                 // 000000016480: D2890052 00012703
	s_lshr_b32 s61, s82, 24                                    // 000000016488: 8F3D9852
	s_and_b32 s82, s82, 0xffffff                               // 00000001648C: 8652FF52 00FFFFFF
	s_mul_i32 s82, s82, s71                                    // 000000016494: 92524752
	s_mul_i32 s61, s60, s61                                    // 000000016498: 923D3D3C
	s_add_u32 s82, s82, s61                                    // 00000001649C: 80523D52
	v_mul_lo_u32 v7, v4, s82                                   // 0000000164A0: D2850007 0000A504
	v_add_u32_e32 v79, v6, v7                                  // 0000000164A8: 689E0F06
	v_readlane_b32 s82, v3, 20                                 // 0000000164AC: D2890052 00012903
	s_lshr_b32 s61, s82, 24                                    // 0000000164B4: 8F3D9852
	s_and_b32 s82, s82, 0xffffff                               // 0000000164B8: 8652FF52 00FFFFFF
	s_mul_i32 s82, s82, s71                                    // 0000000164C0: 92524752
	s_mul_i32 s61, s60, s61                                    // 0000000164C4: 923D3D3C
	s_add_u32 s82, s82, s61                                    // 0000000164C8: 80523D52
	v_mul_lo_u32 v6, v5, s82                                   // 0000000164CC: D2850006 0000A505
	v_readlane_b32 s82, v3, 21                                 // 0000000164D4: D2890052 00012B03
	s_lshr_b32 s61, s82, 24                                    // 0000000164DC: 8F3D9852
	s_and_b32 s82, s82, 0xffffff                               // 0000000164E0: 8652FF52 00FFFFFF
	s_mul_i32 s82, s82, s71                                    // 0000000164E8: 92524752
	s_mul_i32 s61, s60, s61                                    // 0000000164EC: 923D3D3C
	s_add_u32 s82, s82, s61                                    // 0000000164F0: 80523D52
	v_mul_lo_u32 v7, v4, s82                                   // 0000000164F4: D2850007 0000A504
	v_add_u32_e32 v80, v6, v7                                  // 0000000164FC: 68A00F06
	v_readlane_b32 s82, v3, 22                                 // 000000016500: D2890052 00012D03
	s_lshr_b32 s61, s82, 24                                    // 000000016508: 8F3D9852
	s_and_b32 s82, s82, 0xffffff                               // 00000001650C: 8652FF52 00FFFFFF
	s_mul_i32 s82, s82, s71                                    // 000000016514: 92524752
	s_mul_i32 s61, s60, s61                                    // 000000016518: 923D3D3C
	s_add_u32 s82, s82, s61                                    // 00000001651C: 80523D52
	v_mul_lo_u32 v6, v5, s82                                   // 000000016520: D2850006 0000A505
	v_readlane_b32 s82, v3, 23                                 // 000000016528: D2890052 00012F03
	s_lshr_b32 s61, s82, 24                                    // 000000016530: 8F3D9852
	s_and_b32 s82, s82, 0xffffff                               // 000000016534: 8652FF52 00FFFFFF
	s_mul_i32 s82, s82, s71                                    // 00000001653C: 92524752
	s_mul_i32 s61, s60, s61                                    // 000000016540: 923D3D3C
	s_add_u32 s82, s82, s61                                    // 000000016544: 80523D52
	v_mul_lo_u32 v7, v4, s82                                   // 000000016548: D2850007 0000A504
	v_add_u32_e32 v81, v6, v7                                  // 000000016550: 68A20F06
	v_readlane_b32 s82, v3, 24                                 // 000000016554: D2890052 00013103
	s_lshr_b32 s61, s82, 24                                    // 00000001655C: 8F3D9852
	s_and_b32 s82, s82, 0xffffff                               // 000000016560: 8652FF52 00FFFFFF
	s_mul_i32 s82, s82, s71                                    // 000000016568: 92524752
	s_mul_i32 s61, s60, s61                                    // 00000001656C: 923D3D3C
	s_add_u32 s82, s82, s61                                    // 000000016570: 80523D52
	v_mul_lo_u32 v6, v5, s82                                   // 000000016574: D2850006 0000A505
	v_readlane_b32 s82, v3, 25                                 // 00000001657C: D2890052 00013303
	s_lshr_b32 s61, s82, 24                                    // 000000016584: 8F3D9852
	s_and_b32 s82, s82, 0xffffff                               // 000000016588: 8652FF52 00FFFFFF
	s_mul_i32 s82, s82, s71                                    // 000000016590: 92524752
	s_mul_i32 s61, s60, s61                                    // 000000016594: 923D3D3C
	s_add_u32 s82, s82, s61                                    // 000000016598: 80523D52
	v_mul_lo_u32 v7, v4, s82                                   // 00000001659C: D2850007 0000A504
	v_add_u32_e32 v82, v6, v7                                  // 0000000165A4: 68A40F06
	v_readlane_b32 s82, v3, 26                                 // 0000000165A8: D2890052 00013503
	s_lshr_b32 s61, s82, 24                                    // 0000000165B0: 8F3D9852
	s_and_b32 s82, s82, 0xffffff                               // 0000000165B4: 8652FF52 00FFFFFF
	s_mul_i32 s82, s82, s71                                    // 0000000165BC: 92524752
	s_mul_i32 s61, s60, s61                                    // 0000000165C0: 923D3D3C
	s_add_u32 s82, s82, s61                                    // 0000000165C4: 80523D52
	v_mul_lo_u32 v6, v5, s82                                   // 0000000165C8: D2850006 0000A505
	v_readlane_b32 s82, v3, 27                                 // 0000000165D0: D2890052 00013703
	s_lshr_b32 s61, s82, 24                                    // 0000000165D8: 8F3D9852
	s_and_b32 s82, s82, 0xffffff                               // 0000000165DC: 8652FF52 00FFFFFF
	s_mul_i32 s82, s82, s71                                    // 0000000165E4: 92524752
	s_mul_i32 s61, s60, s61                                    // 0000000165E8: 923D3D3C
	s_add_u32 s82, s82, s61                                    // 0000000165EC: 80523D52
	v_mul_lo_u32 v7, v4, s82                                   // 0000000165F0: D2850007 0000A504
	v_add_u32_e32 v83, v6, v7                                  // 0000000165F8: 68A60F06
	v_readlane_b32 s82, v3, 28                                 // 0000000165FC: D2890052 00013903
	s_lshr_b32 s61, s82, 24                                    // 000000016604: 8F3D9852
	s_and_b32 s82, s82, 0xffffff                               // 000000016608: 8652FF52 00FFFFFF
	s_mul_i32 s82, s82, s71                                    // 000000016610: 92524752
	s_mul_i32 s61, s60, s61                                    // 000000016614: 923D3D3C
	s_add_u32 s82, s82, s61                                    // 000000016618: 80523D52
	v_mul_lo_u32 v6, v5, s82                                   // 00000001661C: D2850006 0000A505
	v_readlane_b32 s82, v3, 29                                 // 000000016624: D2890052 00013B03
	s_lshr_b32 s61, s82, 24                                    // 00000001662C: 8F3D9852
	s_and_b32 s82, s82, 0xffffff                               // 000000016630: 8652FF52 00FFFFFF
	s_mul_i32 s82, s82, s71                                    // 000000016638: 92524752
	s_mul_i32 s61, s60, s61                                    // 00000001663C: 923D3D3C
	s_add_u32 s82, s82, s61                                    // 000000016640: 80523D52
	v_mul_lo_u32 v7, v4, s82                                   // 000000016644: D2850007 0000A504
	v_add_u32_e32 v84, v6, v7                                  // 00000001664C: 68A80F06
	v_readlane_b32 s82, v3, 30                                 // 000000016650: D2890052 00013D03
	s_lshr_b32 s61, s82, 24                                    // 000000016658: 8F3D9852
	s_and_b32 s82, s82, 0xffffff                               // 00000001665C: 8652FF52 00FFFFFF
	s_mul_i32 s82, s82, s71                                    // 000000016664: 92524752
	s_mul_i32 s61, s60, s61                                    // 000000016668: 923D3D3C
	s_add_u32 s82, s82, s61                                    // 00000001666C: 80523D52
	v_mul_lo_u32 v6, v5, s82                                   // 000000016670: D2850006 0000A505
	v_readlane_b32 s82, v3, 31                                 // 000000016678: D2890052 00013F03
	s_lshr_b32 s61, s82, 24                                    // 000000016680: 8F3D9852
	s_and_b32 s82, s82, 0xffffff                               // 000000016684: 8652FF52 00FFFFFF
	s_mul_i32 s82, s82, s71                                    // 00000001668C: 92524752
	s_mul_i32 s61, s60, s61                                    // 000000016690: 923D3D3C
	s_add_u32 s82, s82, s61                                    // 000000016694: 80523D52
	v_mul_lo_u32 v7, v4, s82                                   // 000000016698: D2850007 0000A504
	v_add_u32_e32 v85, v6, v7                                  // 0000000166A0: 68AA0F06
	v_readlane_b32 s82, v3, 32                                 // 0000000166A4: D2890052 00014103
	s_lshr_b32 s61, s82, 24                                    // 0000000166AC: 8F3D9852
	s_and_b32 s82, s82, 0xffffff                               // 0000000166B0: 8652FF52 00FFFFFF
	s_mul_i32 s82, s82, s71                                    // 0000000166B8: 92524752
	s_mul_i32 s61, s60, s61                                    // 0000000166BC: 923D3D3C
	s_add_u32 s82, s82, s61                                    // 0000000166C0: 80523D52
	v_mul_lo_u32 v6, v5, s82                                   // 0000000166C4: D2850006 0000A505
	v_readlane_b32 s82, v3, 33                                 // 0000000166CC: D2890052 00014303
	s_lshr_b32 s61, s82, 24                                    // 0000000166D4: 8F3D9852
	s_and_b32 s82, s82, 0xffffff                               // 0000000166D8: 8652FF52 00FFFFFF
	s_mul_i32 s82, s82, s71                                    // 0000000166E0: 92524752
	s_mul_i32 s61, s60, s61                                    // 0000000166E4: 923D3D3C
	s_add_u32 s82, s82, s61                                    // 0000000166E8: 80523D52
	v_mul_lo_u32 v7, v4, s82                                   // 0000000166EC: D2850007 0000A504
	v_add_u32_e32 v86, v6, v7                                  // 0000000166F4: 68AC0F06
	v_readlane_b32 s82, v3, 34                                 // 0000000166F8: D2890052 00014503
	s_lshr_b32 s61, s82, 24                                    // 000000016700: 8F3D9852
	s_and_b32 s82, s82, 0xffffff                               // 000000016704: 8652FF52 00FFFFFF
	s_mul_i32 s82, s82, s71                                    // 00000001670C: 92524752
	s_mul_i32 s61, s60, s61                                    // 000000016710: 923D3D3C
	s_add_u32 s82, s82, s61                                    // 000000016714: 80523D52
	v_mul_lo_u32 v6, v5, s82                                   // 000000016718: D2850006 0000A505
	v_readlane_b32 s82, v3, 35                                 // 000000016720: D2890052 00014703
	s_lshr_b32 s61, s82, 24                                    // 000000016728: 8F3D9852
	s_and_b32 s82, s82, 0xffffff                               // 00000001672C: 8652FF52 00FFFFFF
	s_mul_i32 s82, s82, s71                                    // 000000016734: 92524752
	s_mul_i32 s61, s60, s61                                    // 000000016738: 923D3D3C
	s_add_u32 s82, s82, s61                                    // 00000001673C: 80523D52
	v_mul_lo_u32 v7, v4, s82                                   // 000000016740: D2850007 0000A504
	v_add_u32_e32 v87, v6, v7                                  // 000000016748: 68AE0F06
	v_readlane_b32 s82, v3, 36                                 // 00000001674C: D2890052 00014903
	s_lshr_b32 s61, s82, 24                                    // 000000016754: 8F3D9852
	s_and_b32 s82, s82, 0xffffff                               // 000000016758: 8652FF52 00FFFFFF
	s_mul_i32 s82, s82, s71                                    // 000000016760: 92524752
	s_mul_i32 s61, s60, s61                                    // 000000016764: 923D3D3C
	s_add_u32 s82, s82, s61                                    // 000000016768: 80523D52
	v_mul_lo_u32 v6, v5, s82                                   // 00000001676C: D2850006 0000A505
	v_readlane_b32 s82, v3, 37                                 // 000000016774: D2890052 00014B03
	s_lshr_b32 s61, s82, 24                                    // 00000001677C: 8F3D9852
	s_and_b32 s82, s82, 0xffffff                               // 000000016780: 8652FF52 00FFFFFF
	s_mul_i32 s82, s82, s71                                    // 000000016788: 92524752
	s_mul_i32 s61, s60, s61                                    // 00000001678C: 923D3D3C
	s_add_u32 s82, s82, s61                                    // 000000016790: 80523D52
	v_mul_lo_u32 v7, v4, s82                                   // 000000016794: D2850007 0000A504
	v_add_u32_e32 v88, v6, v7                                  // 00000001679C: 68B00F06
	v_readlane_b32 s82, v3, 38                                 // 0000000167A0: D2890052 00014D03
	s_lshr_b32 s61, s82, 24                                    // 0000000167A8: 8F3D9852
	s_and_b32 s82, s82, 0xffffff                               // 0000000167AC: 8652FF52 00FFFFFF
	s_mul_i32 s82, s82, s71                                    // 0000000167B4: 92524752
	s_mul_i32 s61, s60, s61                                    // 0000000167B8: 923D3D3C
	s_add_u32 s82, s82, s61                                    // 0000000167BC: 80523D52
	v_mul_lo_u32 v6, v5, s82                                   // 0000000167C0: D2850006 0000A505
	v_readlane_b32 s82, v3, 39                                 // 0000000167C8: D2890052 00014F03
	s_lshr_b32 s61, s82, 24                                    // 0000000167D0: 8F3D9852
	s_and_b32 s82, s82, 0xffffff                               // 0000000167D4: 8652FF52 00FFFFFF
	s_mul_i32 s82, s82, s71                                    // 0000000167DC: 92524752
	s_mul_i32 s61, s60, s61                                    // 0000000167E0: 923D3D3C
	s_add_u32 s82, s82, s61                                    // 0000000167E4: 80523D52
	v_mul_lo_u32 v7, v4, s82                                   // 0000000167E8: D2850007 0000A504
	v_add_u32_e32 v89, v6, v7                                  // 0000000167F0: 68B20F06
	v_and_b32_e32 v4, 31, v0                                   // 0000000167F4: 2608009F
	v_lshrrev_b32_e32 v4, 1, v4                                // 0000000167F8: 20080881
	s_cmp_eq_u32 s88, 0                                        // 0000000167FC: BF068058
	s_cselect_b32 s61, 2, 4                                    // 000000016800: 853D8482
	v_mul_lo_u32 v4, v4, s61                                   // 000000016804: D2850004 00007B04
	v_and_b32_e64 v5, v0, 1                                    // 00000001680C: D1130005 00010300
	v_add_u32_e32 v4, v4, v5                                   // 000000016814: 68080B04
	v_lshlrev_b32_e32 v4, 2, v4                                // 000000016818: 24080882
	v_add_u32_e32 v70, v70, v4                                 // 00000001681C: 688C0946
	v_add_u32_e32 v71, v71, v4                                 // 000000016820: 688E0947
	v_add_u32_e32 v72, v72, v4                                 // 000000016824: 68900948
	v_add_u32_e32 v73, v73, v4                                 // 000000016828: 68920949
	v_add_u32_e32 v74, v74, v4                                 // 00000001682C: 6894094A
	v_add_u32_e32 v75, v75, v4                                 // 000000016830: 6896094B
	v_add_u32_e32 v76, v76, v4                                 // 000000016834: 6898094C
	v_add_u32_e32 v77, v77, v4                                 // 000000016838: 689A094D
	v_add_u32_e32 v78, v78, v4                                 // 00000001683C: 689C094E
	v_add_u32_e32 v79, v79, v4                                 // 000000016840: 689E094F
	v_add_u32_e32 v80, v80, v4                                 // 000000016844: 68A00950
	v_add_u32_e32 v81, v81, v4                                 // 000000016848: 68A20951
	v_add_u32_e32 v82, v82, v4                                 // 00000001684C: 68A40952
	v_add_u32_e32 v83, v83, v4                                 // 000000016850: 68A60953
	v_add_u32_e32 v84, v84, v4                                 // 000000016854: 68A80954
	v_add_u32_e32 v85, v85, v4                                 // 000000016858: 68AA0955
	v_add_u32_e32 v86, v86, v4                                 // 00000001685C: 68AC0956
	v_add_u32_e32 v87, v87, v4                                 // 000000016860: 68AE0957
	v_add_u32_e32 v88, v88, v4                                 // 000000016864: 68B00958
	v_add_u32_e32 v89, v89, v4                                 // 000000016868: 68B20959
	s_waitcnt lgkmcnt(0)                                       // 00000001686C: BF8CC07F
	s_barrier                                                  // 000000016870: BF8A0000
	ds_read_b32 v92, v21                                       // 000000016874: D86C0000 5C000015
	ds_read_b32 v93, v21 offset:64                             // 00000001687C: D86C0040 5D000015
	ds_read_b32 v94, v21 offset:2176                           // 000000016884: D86C0880 5E000015
	ds_read_b32 v95, v21 offset:2240                           // 00000001688C: D86C08C0 5F000015
	ds_read_b32 v96, v21 offset:4352                           // 000000016894: D86C1100 60000015
	ds_read_b32 v97, v21 offset:4416                           // 00000001689C: D86C1140 61000015
	ds_read_b32 v98, v21 offset:6528                           // 0000000168A4: D86C1980 62000015
	ds_read_b32 v99, v21 offset:6592                           // 0000000168AC: D86C19C0 63000015
	ds_read_b32 v100, v21 offset:8704                          // 0000000168B4: D86C2200 64000015
	ds_read_b32 v101, v21 offset:8768                          // 0000000168BC: D86C2240 65000015
	ds_read_b32 v102, v21 offset:10880                         // 0000000168C4: D86C2A80 66000015
	ds_read_b32 v103, v21 offset:10944                         // 0000000168CC: D86C2AC0 67000015
	ds_read_b32 v104, v21 offset:13056                         // 0000000168D4: D86C3300 68000015
	ds_read_b32 v105, v21 offset:13120                         // 0000000168DC: D86C3340 69000015
	ds_read_b32 v106, v21 offset:15232                         // 0000000168E4: D86C3B80 6A000015
	ds_read_b32 v107, v21 offset:15296                         // 0000000168EC: D86C3BC0 6B000015
	ds_read_b32 v108, v21 offset:17408                         // 0000000168F4: D86C4400 6C000015
	ds_read_b32 v109, v21 offset:17472                         // 0000000168FC: D86C4440 6D000015
	ds_read_b32 v110, v21 offset:19584                         // 000000016904: D86C4C80 6E000015
	ds_read_b32 v111, v21 offset:19648                         // 00000001690C: D86C4CC0 6F000015
	s_waitcnt lgkmcnt(0)                                       // 000000016914: BF8CC07F
	s_mov_b32 s36, -1                                          // 000000016918: BEA400C1
	s_mov_b32 s37, -1                                          // 00000001691C: BEA500C1
	v_mov_b32_e32 v7, 0                                        // 000000016920: 7E0E0280
	s_or_b32 s9, s9, 0x40000                                   // 000000016924: 8709FF09 00040000
	s_mov_b64 exec, s[36:37]                                   // 00000001692C: BEFE0124
	v_mov_b32_e32 v6, v70                                      // 000000016930: 7E0C0346
	s_mov_b64 s[60:61], 0                                      // 000000016934: BEBC0180
	v_readlane_b32 s82, v3, 0                                  // 000000016938: D2890052 00010103
	s_and_b32 s82, s82, 0xffffff                               // 000000016940: 8652FF52 00FFFFFF
	s_cmp_lt_u32 s82, s66                                      // 000000016948: BF0A4252
	s_cselect_b32 s20, s36, s60                                // 00000001694C: 85143C24
	v_readlane_b32 s82, v3, 1                                  // 000000016950: D2890052 00010303
	s_and_b32 s82, s82, 0xffffff                               // 000000016958: 8652FF52 00FFFFFF
	s_cmp_lt_u32 s82, s66                                      // 000000016960: BF0A4252
	s_cselect_b32 s21, s36, s60                                // 000000016964: 85153C24
	s_mov_b64 exec, s[20:21]                                   // 000000016968: BEFE0114
	buffer_store_dword v92, v6, s[8:11], 0 offen               // 00000001696C: E0701000 80025C06
	s_mov_b64 exec, s[36:37]                                   // 000000016974: BEFE0124
	v_mov_b32_e32 v6, v71                                      // 000000016978: 7E0C0347
	s_mov_b64 s[60:61], 0                                      // 00000001697C: BEBC0180
	v_readlane_b32 s82, v3, 2                                  // 000000016980: D2890052 00010503
	s_and_b32 s82, s82, 0xffffff                               // 000000016988: 8652FF52 00FFFFFF
	s_cmp_lt_u32 s82, s66                                      // 000000016990: BF0A4252
	s_cselect_b32 s20, s36, s60                                // 000000016994: 85143C24
	v_readlane_b32 s82, v3, 3                                  // 000000016998: D2890052 00010703
	s_and_b32 s82, s82, 0xffffff                               // 0000000169A0: 8652FF52 00FFFFFF
	s_cmp_lt_u32 s82, s66                                      // 0000000169A8: BF0A4252
	s_cselect_b32 s21, s36, s60                                // 0000000169AC: 85153C24
	s_mov_b64 exec, s[20:21]                                   // 0000000169B0: BEFE0114
	buffer_store_dword v93, v6, s[8:11], 0 offen               // 0000000169B4: E0701000 80025D06
	s_mov_b64 exec, s[36:37]                                   // 0000000169BC: BEFE0124
	v_mov_b32_e32 v6, v72                                      // 0000000169C0: 7E0C0348
	s_mov_b64 s[60:61], 0                                      // 0000000169C4: BEBC0180
	v_readlane_b32 s82, v3, 4                                  // 0000000169C8: D2890052 00010903
	s_and_b32 s82, s82, 0xffffff                               // 0000000169D0: 8652FF52 00FFFFFF
	s_cmp_lt_u32 s82, s66                                      // 0000000169D8: BF0A4252
	s_cselect_b32 s20, s36, s60                                // 0000000169DC: 85143C24
	v_readlane_b32 s82, v3, 5                                  // 0000000169E0: D2890052 00010B03
	s_and_b32 s82, s82, 0xffffff                               // 0000000169E8: 8652FF52 00FFFFFF
	s_cmp_lt_u32 s82, s66                                      // 0000000169F0: BF0A4252
	s_cselect_b32 s21, s36, s60                                // 0000000169F4: 85153C24
	s_mov_b64 exec, s[20:21]                                   // 0000000169F8: BEFE0114
	buffer_store_dword v94, v6, s[8:11], 0 offen               // 0000000169FC: E0701000 80025E06
	s_mov_b64 exec, s[36:37]                                   // 000000016A04: BEFE0124
	v_mov_b32_e32 v6, v73                                      // 000000016A08: 7E0C0349
	s_mov_b64 s[60:61], 0                                      // 000000016A0C: BEBC0180
	v_readlane_b32 s82, v3, 6                                  // 000000016A10: D2890052 00010D03
	s_and_b32 s82, s82, 0xffffff                               // 000000016A18: 8652FF52 00FFFFFF
	s_cmp_lt_u32 s82, s66                                      // 000000016A20: BF0A4252
	s_cselect_b32 s20, s36, s60                                // 000000016A24: 85143C24
	v_readlane_b32 s82, v3, 7                                  // 000000016A28: D2890052 00010F03
	s_and_b32 s82, s82, 0xffffff                               // 000000016A30: 8652FF52 00FFFFFF
	s_cmp_lt_u32 s82, s66                                      // 000000016A38: BF0A4252
	s_cselect_b32 s21, s36, s60                                // 000000016A3C: 85153C24
	s_mov_b64 exec, s[20:21]                                   // 000000016A40: BEFE0114
	buffer_store_dword v95, v6, s[8:11], 0 offen               // 000000016A44: E0701000 80025F06
	s_mov_b64 exec, s[36:37]                                   // 000000016A4C: BEFE0124
	v_mov_b32_e32 v6, v74                                      // 000000016A50: 7E0C034A
	s_mov_b64 s[60:61], 0                                      // 000000016A54: BEBC0180
	v_readlane_b32 s82, v3, 8                                  // 000000016A58: D2890052 00011103
	s_and_b32 s82, s82, 0xffffff                               // 000000016A60: 8652FF52 00FFFFFF
	s_cmp_lt_u32 s82, s66                                      // 000000016A68: BF0A4252
	s_cselect_b32 s20, s36, s60                                // 000000016A6C: 85143C24
	v_readlane_b32 s82, v3, 9                                  // 000000016A70: D2890052 00011303
	s_and_b32 s82, s82, 0xffffff                               // 000000016A78: 8652FF52 00FFFFFF
	s_cmp_lt_u32 s82, s66                                      // 000000016A80: BF0A4252
	s_cselect_b32 s21, s36, s60                                // 000000016A84: 85153C24
	s_mov_b64 exec, s[20:21]                                   // 000000016A88: BEFE0114
	buffer_store_dword v96, v6, s[8:11], 0 offen               // 000000016A8C: E0701000 80026006
	s_mov_b64 exec, s[36:37]                                   // 000000016A94: BEFE0124
	v_mov_b32_e32 v6, v75                                      // 000000016A98: 7E0C034B
	s_mov_b64 s[60:61], 0                                      // 000000016A9C: BEBC0180
	v_readlane_b32 s82, v3, 10                                 // 000000016AA0: D2890052 00011503
	s_and_b32 s82, s82, 0xffffff                               // 000000016AA8: 8652FF52 00FFFFFF
	s_cmp_lt_u32 s82, s66                                      // 000000016AB0: BF0A4252
	s_cselect_b32 s20, s36, s60                                // 000000016AB4: 85143C24
	v_readlane_b32 s82, v3, 11                                 // 000000016AB8: D2890052 00011703
	s_and_b32 s82, s82, 0xffffff                               // 000000016AC0: 8652FF52 00FFFFFF
	s_cmp_lt_u32 s82, s66                                      // 000000016AC8: BF0A4252
	s_cselect_b32 s21, s36, s60                                // 000000016ACC: 85153C24
	s_mov_b64 exec, s[20:21]                                   // 000000016AD0: BEFE0114
	buffer_store_dword v97, v6, s[8:11], 0 offen               // 000000016AD4: E0701000 80026106
	s_mov_b64 exec, s[36:37]                                   // 000000016ADC: BEFE0124
	v_mov_b32_e32 v6, v76                                      // 000000016AE0: 7E0C034C
	s_mov_b64 s[60:61], 0                                      // 000000016AE4: BEBC0180
	v_readlane_b32 s82, v3, 12                                 // 000000016AE8: D2890052 00011903
	s_and_b32 s82, s82, 0xffffff                               // 000000016AF0: 8652FF52 00FFFFFF
	s_cmp_lt_u32 s82, s66                                      // 000000016AF8: BF0A4252
	s_cselect_b32 s20, s36, s60                                // 000000016AFC: 85143C24
	v_readlane_b32 s82, v3, 13                                 // 000000016B00: D2890052 00011B03
	s_and_b32 s82, s82, 0xffffff                               // 000000016B08: 8652FF52 00FFFFFF
	s_cmp_lt_u32 s82, s66                                      // 000000016B10: BF0A4252
	s_cselect_b32 s21, s36, s60                                // 000000016B14: 85153C24
	s_mov_b64 exec, s[20:21]                                   // 000000016B18: BEFE0114
	buffer_store_dword v98, v6, s[8:11], 0 offen               // 000000016B1C: E0701000 80026206
	s_mov_b64 exec, s[36:37]                                   // 000000016B24: BEFE0124
	v_mov_b32_e32 v6, v77                                      // 000000016B28: 7E0C034D
	s_mov_b64 s[60:61], 0                                      // 000000016B2C: BEBC0180
	v_readlane_b32 s82, v3, 14                                 // 000000016B30: D2890052 00011D03
	s_and_b32 s82, s82, 0xffffff                               // 000000016B38: 8652FF52 00FFFFFF
	s_cmp_lt_u32 s82, s66                                      // 000000016B40: BF0A4252
	s_cselect_b32 s20, s36, s60                                // 000000016B44: 85143C24
	v_readlane_b32 s82, v3, 15                                 // 000000016B48: D2890052 00011F03
	s_and_b32 s82, s82, 0xffffff                               // 000000016B50: 8652FF52 00FFFFFF
	s_cmp_lt_u32 s82, s66                                      // 000000016B58: BF0A4252
	s_cselect_b32 s21, s36, s60                                // 000000016B5C: 85153C24
	s_mov_b64 exec, s[20:21]                                   // 000000016B60: BEFE0114
	buffer_store_dword v99, v6, s[8:11], 0 offen               // 000000016B64: E0701000 80026306
	s_mov_b64 exec, s[36:37]                                   // 000000016B6C: BEFE0124
	v_mov_b32_e32 v6, v78                                      // 000000016B70: 7E0C034E
	s_mov_b64 s[60:61], 0                                      // 000000016B74: BEBC0180
	v_readlane_b32 s82, v3, 16                                 // 000000016B78: D2890052 00012103
	s_and_b32 s82, s82, 0xffffff                               // 000000016B80: 8652FF52 00FFFFFF
	s_cmp_lt_u32 s82, s66                                      // 000000016B88: BF0A4252
	s_cselect_b32 s20, s36, s60                                // 000000016B8C: 85143C24
	v_readlane_b32 s82, v3, 17                                 // 000000016B90: D2890052 00012303
	s_and_b32 s82, s82, 0xffffff                               // 000000016B98: 8652FF52 00FFFFFF
	s_cmp_lt_u32 s82, s66                                      // 000000016BA0: BF0A4252
	s_cselect_b32 s21, s36, s60                                // 000000016BA4: 85153C24
	s_mov_b64 exec, s[20:21]                                   // 000000016BA8: BEFE0114
	buffer_store_dword v100, v6, s[8:11], 0 offen              // 000000016BAC: E0701000 80026406
	s_mov_b64 exec, s[36:37]                                   // 000000016BB4: BEFE0124
	v_mov_b32_e32 v6, v79                                      // 000000016BB8: 7E0C034F
	s_mov_b64 s[60:61], 0                                      // 000000016BBC: BEBC0180
	v_readlane_b32 s82, v3, 18                                 // 000000016BC0: D2890052 00012503
	s_and_b32 s82, s82, 0xffffff                               // 000000016BC8: 8652FF52 00FFFFFF
	s_cmp_lt_u32 s82, s66                                      // 000000016BD0: BF0A4252
	s_cselect_b32 s20, s36, s60                                // 000000016BD4: 85143C24
	v_readlane_b32 s82, v3, 19                                 // 000000016BD8: D2890052 00012703
	s_and_b32 s82, s82, 0xffffff                               // 000000016BE0: 8652FF52 00FFFFFF
	s_cmp_lt_u32 s82, s66                                      // 000000016BE8: BF0A4252
	s_cselect_b32 s21, s36, s60                                // 000000016BEC: 85153C24
	s_mov_b64 exec, s[20:21]                                   // 000000016BF0: BEFE0114
	buffer_store_dword v101, v6, s[8:11], 0 offen              // 000000016BF4: E0701000 80026506
	s_mov_b64 exec, s[36:37]                                   // 000000016BFC: BEFE0124
	v_mov_b32_e32 v6, v80                                      // 000000016C00: 7E0C0350
	s_mov_b64 s[60:61], 0                                      // 000000016C04: BEBC0180
	v_readlane_b32 s82, v3, 20                                 // 000000016C08: D2890052 00012903
	s_and_b32 s82, s82, 0xffffff                               // 000000016C10: 8652FF52 00FFFFFF
	s_cmp_lt_u32 s82, s66                                      // 000000016C18: BF0A4252
	s_cselect_b32 s20, s36, s60                                // 000000016C1C: 85143C24
	v_readlane_b32 s82, v3, 21                                 // 000000016C20: D2890052 00012B03
	s_and_b32 s82, s82, 0xffffff                               // 000000016C28: 8652FF52 00FFFFFF
	s_cmp_lt_u32 s82, s66                                      // 000000016C30: BF0A4252
	s_cselect_b32 s21, s36, s60                                // 000000016C34: 85153C24
	s_mov_b64 exec, s[20:21]                                   // 000000016C38: BEFE0114
	buffer_store_dword v102, v6, s[8:11], 0 offen              // 000000016C3C: E0701000 80026606
	s_mov_b64 exec, s[36:37]                                   // 000000016C44: BEFE0124
	v_mov_b32_e32 v6, v81                                      // 000000016C48: 7E0C0351
	s_mov_b64 s[60:61], 0                                      // 000000016C4C: BEBC0180
	v_readlane_b32 s82, v3, 22                                 // 000000016C50: D2890052 00012D03
	s_and_b32 s82, s82, 0xffffff                               // 000000016C58: 8652FF52 00FFFFFF
	s_cmp_lt_u32 s82, s66                                      // 000000016C60: BF0A4252
	s_cselect_b32 s20, s36, s60                                // 000000016C64: 85143C24
	v_readlane_b32 s82, v3, 23                                 // 000000016C68: D2890052 00012F03
	s_and_b32 s82, s82, 0xffffff                               // 000000016C70: 8652FF52 00FFFFFF
	s_cmp_lt_u32 s82, s66                                      // 000000016C78: BF0A4252
	s_cselect_b32 s21, s36, s60                                // 000000016C7C: 85153C24
	s_mov_b64 exec, s[20:21]                                   // 000000016C80: BEFE0114
	buffer_store_dword v103, v6, s[8:11], 0 offen              // 000000016C84: E0701000 80026706
	s_mov_b64 exec, s[36:37]                                   // 000000016C8C: BEFE0124
	v_mov_b32_e32 v6, v82                                      // 000000016C90: 7E0C0352
	s_mov_b64 s[60:61], 0                                      // 000000016C94: BEBC0180
	v_readlane_b32 s82, v3, 24                                 // 000000016C98: D2890052 00013103
	s_and_b32 s82, s82, 0xffffff                               // 000000016CA0: 8652FF52 00FFFFFF
	s_cmp_lt_u32 s82, s66                                      // 000000016CA8: BF0A4252
	s_cselect_b32 s20, s36, s60                                // 000000016CAC: 85143C24
	v_readlane_b32 s82, v3, 25                                 // 000000016CB0: D2890052 00013303
	s_and_b32 s82, s82, 0xffffff                               // 000000016CB8: 8652FF52 00FFFFFF
	s_cmp_lt_u32 s82, s66                                      // 000000016CC0: BF0A4252
	s_cselect_b32 s21, s36, s60                                // 000000016CC4: 85153C24
	s_mov_b64 exec, s[20:21]                                   // 000000016CC8: BEFE0114
	buffer_store_dword v104, v6, s[8:11], 0 offen              // 000000016CCC: E0701000 80026806
	s_mov_b64 exec, s[36:37]                                   // 000000016CD4: BEFE0124
	v_mov_b32_e32 v6, v83                                      // 000000016CD8: 7E0C0353
	s_mov_b64 s[60:61], 0                                      // 000000016CDC: BEBC0180
	v_readlane_b32 s82, v3, 26                                 // 000000016CE0: D2890052 00013503
	s_and_b32 s82, s82, 0xffffff                               // 000000016CE8: 8652FF52 00FFFFFF
	s_cmp_lt_u32 s82, s66                                      // 000000016CF0: BF0A4252
	s_cselect_b32 s20, s36, s60                                // 000000016CF4: 85143C24
	v_readlane_b32 s82, v3, 27                                 // 000000016CF8: D2890052 00013703
	s_and_b32 s82, s82, 0xffffff                               // 000000016D00: 8652FF52 00FFFFFF
	s_cmp_lt_u32 s82, s66                                      // 000000016D08: BF0A4252
	s_cselect_b32 s21, s36, s60                                // 000000016D0C: 85153C24
	s_mov_b64 exec, s[20:21]                                   // 000000016D10: BEFE0114
	buffer_store_dword v105, v6, s[8:11], 0 offen              // 000000016D14: E0701000 80026906
	s_mov_b64 exec, s[36:37]                                   // 000000016D1C: BEFE0124
	v_mov_b32_e32 v6, v84                                      // 000000016D20: 7E0C0354
	s_mov_b64 s[60:61], 0                                      // 000000016D24: BEBC0180
	v_readlane_b32 s82, v3, 28                                 // 000000016D28: D2890052 00013903
	s_and_b32 s82, s82, 0xffffff                               // 000000016D30: 8652FF52 00FFFFFF
	s_cmp_lt_u32 s82, s66                                      // 000000016D38: BF0A4252
	s_cselect_b32 s20, s36, s60                                // 000000016D3C: 85143C24
	v_readlane_b32 s82, v3, 29                                 // 000000016D40: D2890052 00013B03
	s_and_b32 s82, s82, 0xffffff                               // 000000016D48: 8652FF52 00FFFFFF
	s_cmp_lt_u32 s82, s66                                      // 000000016D50: BF0A4252
	s_cselect_b32 s21, s36, s60                                // 000000016D54: 85153C24
	s_mov_b64 exec, s[20:21]                                   // 000000016D58: BEFE0114
	buffer_store_dword v106, v6, s[8:11], 0 offen              // 000000016D5C: E0701000 80026A06
	s_mov_b64 exec, s[36:37]                                   // 000000016D64: BEFE0124
	v_mov_b32_e32 v6, v85                                      // 000000016D68: 7E0C0355
	s_mov_b64 s[60:61], 0                                      // 000000016D6C: BEBC0180
	v_readlane_b32 s82, v3, 30                                 // 000000016D70: D2890052 00013D03
	s_and_b32 s82, s82, 0xffffff                               // 000000016D78: 8652FF52 00FFFFFF
	s_cmp_lt_u32 s82, s66                                      // 000000016D80: BF0A4252
	s_cselect_b32 s20, s36, s60                                // 000000016D84: 85143C24
	v_readlane_b32 s82, v3, 31                                 // 000000016D88: D2890052 00013F03
	s_and_b32 s82, s82, 0xffffff                               // 000000016D90: 8652FF52 00FFFFFF
	s_cmp_lt_u32 s82, s66                                      // 000000016D98: BF0A4252
	s_cselect_b32 s21, s36, s60                                // 000000016D9C: 85153C24
	s_mov_b64 exec, s[20:21]                                   // 000000016DA0: BEFE0114
	buffer_store_dword v107, v6, s[8:11], 0 offen              // 000000016DA4: E0701000 80026B06
	s_mov_b64 exec, s[36:37]                                   // 000000016DAC: BEFE0124
	v_mov_b32_e32 v6, v86                                      // 000000016DB0: 7E0C0356
	s_mov_b64 s[60:61], 0                                      // 000000016DB4: BEBC0180
	v_readlane_b32 s82, v3, 32                                 // 000000016DB8: D2890052 00014103
	s_and_b32 s82, s82, 0xffffff                               // 000000016DC0: 8652FF52 00FFFFFF
	s_cmp_lt_u32 s82, s66                                      // 000000016DC8: BF0A4252
	s_cselect_b32 s20, s36, s60                                // 000000016DCC: 85143C24
	v_readlane_b32 s82, v3, 33                                 // 000000016DD0: D2890052 00014303
	s_and_b32 s82, s82, 0xffffff                               // 000000016DD8: 8652FF52 00FFFFFF
	s_cmp_lt_u32 s82, s66                                      // 000000016DE0: BF0A4252
	s_cselect_b32 s21, s36, s60                                // 000000016DE4: 85153C24
	s_mov_b64 exec, s[20:21]                                   // 000000016DE8: BEFE0114
	buffer_store_dword v108, v6, s[8:11], 0 offen              // 000000016DEC: E0701000 80026C06
	s_mov_b64 exec, s[36:37]                                   // 000000016DF4: BEFE0124
	v_mov_b32_e32 v6, v87                                      // 000000016DF8: 7E0C0357
	s_mov_b64 s[60:61], 0                                      // 000000016DFC: BEBC0180
	v_readlane_b32 s82, v3, 34                                 // 000000016E00: D2890052 00014503
	s_and_b32 s82, s82, 0xffffff                               // 000000016E08: 8652FF52 00FFFFFF
	s_cmp_lt_u32 s82, s66                                      // 000000016E10: BF0A4252
	s_cselect_b32 s20, s36, s60                                // 000000016E14: 85143C24
	v_readlane_b32 s82, v3, 35                                 // 000000016E18: D2890052 00014703
	s_and_b32 s82, s82, 0xffffff                               // 000000016E20: 8652FF52 00FFFFFF
	s_cmp_lt_u32 s82, s66                                      // 000000016E28: BF0A4252
	s_cselect_b32 s21, s36, s60                                // 000000016E2C: 85153C24
	s_mov_b64 exec, s[20:21]                                   // 000000016E30: BEFE0114
	buffer_store_dword v109, v6, s[8:11], 0 offen              // 000000016E34: E0701000 80026D06
	s_mov_b64 exec, s[36:37]                                   // 000000016E3C: BEFE0124
	v_mov_b32_e32 v6, v88                                      // 000000016E40: 7E0C0358
	s_mov_b64 s[60:61], 0                                      // 000000016E44: BEBC0180
	v_readlane_b32 s82, v3, 36                                 // 000000016E48: D2890052 00014903
	s_and_b32 s82, s82, 0xffffff                               // 000000016E50: 8652FF52 00FFFFFF
	s_cmp_lt_u32 s82, s66                                      // 000000016E58: BF0A4252
	s_cselect_b32 s20, s36, s60                                // 000000016E5C: 85143C24
	v_readlane_b32 s82, v3, 37                                 // 000000016E60: D2890052 00014B03
	s_and_b32 s82, s82, 0xffffff                               // 000000016E68: 8652FF52 00FFFFFF
	s_cmp_lt_u32 s82, s66                                      // 000000016E70: BF0A4252
	s_cselect_b32 s21, s36, s60                                // 000000016E74: 85153C24
	s_mov_b64 exec, s[20:21]                                   // 000000016E78: BEFE0114
	buffer_store_dword v110, v6, s[8:11], 0 offen              // 000000016E7C: E0701000 80026E06
	s_mov_b64 exec, s[36:37]                                   // 000000016E84: BEFE0124
	v_mov_b32_e32 v6, v89                                      // 000000016E88: 7E0C0359
	s_mov_b64 s[60:61], 0                                      // 000000016E8C: BEBC0180
	v_readlane_b32 s82, v3, 38                                 // 000000016E90: D2890052 00014D03
	s_and_b32 s82, s82, 0xffffff                               // 000000016E98: 8652FF52 00FFFFFF
	s_cmp_lt_u32 s82, s66                                      // 000000016EA0: BF0A4252
	s_cselect_b32 s20, s36, s60                                // 000000016EA4: 85143C24
	v_readlane_b32 s82, v3, 39                                 // 000000016EA8: D2890052 00014F03
	s_and_b32 s82, s82, 0xffffff                               // 000000016EB0: 8652FF52 00FFFFFF
	s_cmp_lt_u32 s82, s66                                      // 000000016EB8: BF0A4252
	s_cselect_b32 s21, s36, s60                                // 000000016EBC: 85153C24
	s_mov_b64 exec, s[20:21]                                   // 000000016EC0: BEFE0114
	buffer_store_dword v111, v6, s[8:11], 0 offen              // 000000016EC4: E0701000 80026F06
	s_mov_b64 exec, s[36:37]                                   // 000000016ECC: BEFE0124
	s_cmp_eq_u32 s7, 0                                         // 000000016ED0: BF068007
	s_cbranch_scc0 label_5BB8                                  // 000000016ED4: BF840A7F
	s_waitcnt vmcnt(20)                                        // 000000016ED8: BF8C4F74
	s_mov_b32 s8, s90                                          // 000000016EDC: BE88005A
	s_mov_b32 s9, s91                                          // 000000016EE0: BE89005B
	s_mul_i32 s60, s66, s71                                    // 000000016EE4: 923C4742
	s_add_u32 s8, s60, s8                                      // 000000016EE8: 8008083C
	s_addc_u32 s9, 0, s9                                       // 000000016EEC: 82090980
	s_lshr_b32 s71, s71, 5                                     // 000000016EF0: 8F478547
	s_mul_i32 s60, s66, s71                                    // 000000016EF4: 923C4742
	s_mov_b32 s10, s60                                         // 000000016EF8: BE8A003C
	s_lshr_b32 s61, s65, 5                                     // 000000016EFC: 8F3D8541
	s_mul_i32 s60, s2, 4                                       // 000000016F00: 923C8402
	v_lshrrev_b32_e32 v4, 24, v30                              // 000000016F04: 20083C98
	v_mul_lo_u32 v4, s61, v4                                   // 000000016F08: D2850004 0002083D
	v_and_b32_e32 v30, 0xffffff, v30                           // 000000016F10: 263C3CFF 00FFFFFF
	v_mul_lo_u32 v30, s71, v30                                 // 000000016F18: D285001E 00023C47
	v_add_u32_e32 v30, v4, v30                                 // 000000016F20: 683C3D04
	v_add_u32_e32 v30, s60, v30                                // 000000016F24: 683C3C3C
	v_lshrrev_b32_e32 v4, 24, v31                              // 000000016F28: 20083E98
	v_mul_lo_u32 v4, s61, v4                                   // 000000016F2C: D2850004 0002083D
	v_and_b32_e32 v31, 0xffffff, v31                           // 000000016F34: 263E3EFF 00FFFFFF
	v_mul_lo_u32 v31, s71, v31                                 // 000000016F3C: D285001F 00023E47
	v_add_u32_e32 v31, v4, v31                                 // 000000016F44: 683E3F04
	v_add_u32_e32 v31, s60, v31                                // 000000016F48: 683E3E3C
	v_lshrrev_b32_e32 v4, 24, v32                              // 000000016F4C: 20084098
	v_mul_lo_u32 v4, s61, v4                                   // 000000016F50: D2850004 0002083D
	v_and_b32_e32 v32, 0xffffff, v32                           // 000000016F58: 264040FF 00FFFFFF
	v_mul_lo_u32 v32, s71, v32                                 // 000000016F60: D2850020 00024047
	v_add_u32_e32 v32, v4, v32                                 // 000000016F68: 68404104
	v_add_u32_e32 v32, s60, v32                                // 000000016F6C: 6840403C
	v_lshrrev_b32_e32 v4, 24, v33                              // 000000016F70: 20084298
	v_mul_lo_u32 v4, s61, v4                                   // 000000016F74: D2850004 0002083D
	v_and_b32_e32 v33, 0xffffff, v33                           // 000000016F7C: 264242FF 00FFFFFF
	v_mul_lo_u32 v33, s71, v33                                 // 000000016F84: D2850021 00024247
	v_add_u32_e32 v33, v4, v33                                 // 000000016F8C: 68424304
	v_add_u32_e32 v33, s60, v33                                // 000000016F90: 6842423C
	v_lshrrev_b32_e32 v4, 24, v34                              // 000000016F94: 20084498
	v_mul_lo_u32 v4, s61, v4                                   // 000000016F98: D2850004 0002083D
	v_and_b32_e32 v34, 0xffffff, v34                           // 000000016FA0: 264444FF 00FFFFFF
	v_mul_lo_u32 v34, s71, v34                                 // 000000016FA8: D2850022 00024447
	v_add_u32_e32 v34, v4, v34                                 // 000000016FB0: 68444504
	v_add_u32_e32 v34, s60, v34                                // 000000016FB4: 6844443C
	v_lshrrev_b32_e32 v4, 24, v35                              // 000000016FB8: 20084698
	v_mul_lo_u32 v4, s61, v4                                   // 000000016FBC: D2850004 0002083D
	v_and_b32_e32 v35, 0xffffff, v35                           // 000000016FC4: 264646FF 00FFFFFF
	v_mul_lo_u32 v35, s71, v35                                 // 000000016FCC: D2850023 00024647
	v_add_u32_e32 v35, v4, v35                                 // 000000016FD4: 68464704
	v_add_u32_e32 v35, s60, v35                                // 000000016FD8: 6846463C
	v_lshrrev_b32_e32 v4, 24, v36                              // 000000016FDC: 20084898
	v_mul_lo_u32 v4, s61, v4                                   // 000000016FE0: D2850004 0002083D
	v_and_b32_e32 v36, 0xffffff, v36                           // 000000016FE8: 264848FF 00FFFFFF
	v_mul_lo_u32 v36, s71, v36                                 // 000000016FF0: D2850024 00024847
	v_add_u32_e32 v36, v4, v36                                 // 000000016FF8: 68484904
	v_add_u32_e32 v36, s60, v36                                // 000000016FFC: 6848483C
	v_lshrrev_b32_e32 v4, 24, v37                              // 000000017000: 20084A98
	v_mul_lo_u32 v4, s61, v4                                   // 000000017004: D2850004 0002083D
	v_and_b32_e32 v37, 0xffffff, v37                           // 00000001700C: 264A4AFF 00FFFFFF
	v_mul_lo_u32 v37, s71, v37                                 // 000000017014: D2850025 00024A47
	v_add_u32_e32 v37, v4, v37                                 // 00000001701C: 684A4B04
	v_add_u32_e32 v37, s60, v37                                // 000000017020: 684A4A3C
	v_lshrrev_b32_e32 v4, 24, v38                              // 000000017024: 20084C98
	v_mul_lo_u32 v4, s61, v4                                   // 000000017028: D2850004 0002083D
	v_and_b32_e32 v38, 0xffffff, v38                           // 000000017030: 264C4CFF 00FFFFFF
	v_mul_lo_u32 v38, s71, v38                                 // 000000017038: D2850026 00024C47
	v_add_u32_e32 v38, v4, v38                                 // 000000017040: 684C4D04
	v_add_u32_e32 v38, s60, v38                                // 000000017044: 684C4C3C
	v_lshrrev_b32_e32 v4, 24, v39                              // 000000017048: 20084E98
	v_mul_lo_u32 v4, s61, v4                                   // 00000001704C: D2850004 0002083D
	v_and_b32_e32 v39, 0xffffff, v39                           // 000000017054: 264E4EFF 00FFFFFF
	v_mul_lo_u32 v39, s71, v39                                 // 00000001705C: D2850027 00024E47
	v_add_u32_e32 v39, v4, v39                                 // 000000017064: 684E4F04
	v_add_u32_e32 v39, s60, v39                                // 000000017068: 684E4E3C
	s_mov_b64 exec, 0xffff                                     // 00000001706C: BEFE01FF 0000FFFF
	buffer_store_dword v172, v30, s[8:11], 0 offen             // 000000017074: E0701000 8002AC1E
	buffer_store_dword v173, v31, s[8:11], 0 offen             // 00000001707C: E0701000 8002AD1F
	buffer_store_dword v174, v32, s[8:11], 0 offen             // 000000017084: E0701000 8002AE20
	buffer_store_dword v175, v33, s[8:11], 0 offen             // 00000001708C: E0701000 8002AF21
	buffer_store_dword v176, v34, s[8:11], 0 offen             // 000000017094: E0701000 8002B022
	buffer_store_dword v177, v35, s[8:11], 0 offen             // 00000001709C: E0701000 8002B123
	buffer_store_dword v178, v36, s[8:11], 0 offen             // 0000000170A4: E0701000 8002B224
	buffer_store_dword v179, v37, s[8:11], 0 offen             // 0000000170AC: E0701000 8002B325
	buffer_store_dword v180, v38, s[8:11], 0 offen             // 0000000170B4: E0701000 8002B426
	buffer_store_dword v181, v39, s[8:11], 0 offen             // 0000000170BC: E0701000 8002B527
	s_mov_b64 exec, s[36:37]                                   // 0000000170C4: BEFE0124
	s_branch label_5BB8                                        // 0000000170C8: BF820A02

00000000000170cc <label_51B6>:
	ds_write_b64 v20, v[92:93]                                 // 0000000170CC: D89A0000 00005C14
	ds_write_b64 v20, v[96:97] offset:4352                     // 0000000170D4: D89A1100 00006014
	ds_write_b64 v20, v[100:101] offset:8704                   // 0000000170DC: D89A2200 00006414
	ds_write_b64 v20, v[104:105] offset:13056                  // 0000000170E4: D89A3300 00006814
	ds_write_b64 v20, v[108:109] offset:17408                  // 0000000170EC: D89A4400 00006C14
	ds_write_b64 v20, v[112:113] offset:21760                  // 0000000170F4: D89A5500 00007014
	ds_write_b64 v20, v[116:117] offset:26112                  // 0000000170FC: D89A6600 00007414
	ds_write_b64 v20, v[120:121] offset:30464                  // 000000017104: D89A7700 00007814
	ds_write_b64 v20, v[124:125] offset:34816                  // 00000001710C: D89A8800 00007C14
	ds_write_b64 v20, v[128:129] offset:39168                  // 000000017114: D89A9900 00008014
	ds_write_b64 v20, v[132:133] offset:2176                   // 00000001711C: D89A0880 00008414
	ds_write_b64 v20, v[136:137] offset:6528                   // 000000017124: D89A1980 00008814
	ds_write_b64 v20, v[140:141] offset:10880                  // 00000001712C: D89A2A80 00008C14
	ds_write_b64 v20, v[144:145] offset:15232                  // 000000017134: D89A3B80 00009014
	ds_write_b64 v20, v[148:149] offset:19584                  // 00000001713C: D89A4C80 00009414
	ds_write_b64 v20, v[152:153] offset:23936                  // 000000017144: D89A5D80 00009814
	ds_write_b64 v20, v[156:157] offset:28288                  // 00000001714C: D89A6E80 00009C14
	ds_write_b64 v20, v[160:161] offset:32640                  // 000000017154: D89A7F80 0000A014
	ds_write_b64 v20, v[164:165] offset:36992                  // 00000001715C: D89A9080 0000A414
	ds_write_b64 v20, v[168:169] offset:41344                  // 000000017164: D89AA180 0000A814
	v_lshrrev_b32_e32 v4, 5, v0                                // 00000001716C: 20080085
	v_xor_b32_e32 v5, 1, v4                                    // 000000017170: 2A0A0881
	s_mul_i32 s60, s65, 1                                      // 000000017174: 923C8141
	s_cmp_eq_u32 s88, 0                                        // 000000017178: BF068058
	s_cselect_b32 s61, 1, 8                                    // 00000001717C: 853D8881
	s_mul_i32 s60, s61, s60                                    // 000000017180: 923C3C3D
	v_readlane_b32 s82, v3, 0                                  // 000000017184: D2890052 00010103
	s_lshr_b32 s61, s82, 24                                    // 00000001718C: 8F3D9852
	s_and_b32 s82, s82, 0xffffff                               // 000000017190: 8652FF52 00FFFFFF
	s_mul_i32 s82, s82, s71                                    // 000000017198: 92524752
	s_mul_i32 s61, s60, s61                                    // 00000001719C: 923D3D3C
	s_add_u32 s82, s82, s61                                    // 0000000171A0: 80523D52
	v_mul_lo_u32 v6, v5, s82                                   // 0000000171A4: D2850006 0000A505
	v_readlane_b32 s82, v3, 1                                  // 0000000171AC: D2890052 00010303
	s_lshr_b32 s61, s82, 24                                    // 0000000171B4: 8F3D9852
	s_and_b32 s82, s82, 0xffffff                               // 0000000171B8: 8652FF52 00FFFFFF
	s_mul_i32 s82, s82, s71                                    // 0000000171C0: 92524752
	s_mul_i32 s61, s60, s61                                    // 0000000171C4: 923D3D3C
	s_add_u32 s82, s82, s61                                    // 0000000171C8: 80523D52
	v_mul_lo_u32 v7, v4, s82                                   // 0000000171CC: D2850007 0000A504
	v_add_u32_e32 v70, v6, v7                                  // 0000000171D4: 688C0F06
	v_readlane_b32 s82, v3, 2                                  // 0000000171D8: D2890052 00010503
	s_lshr_b32 s61, s82, 24                                    // 0000000171E0: 8F3D9852
	s_and_b32 s82, s82, 0xffffff                               // 0000000171E4: 8652FF52 00FFFFFF
	s_mul_i32 s82, s82, s71                                    // 0000000171EC: 92524752
	s_mul_i32 s61, s60, s61                                    // 0000000171F0: 923D3D3C
	s_add_u32 s82, s82, s61                                    // 0000000171F4: 80523D52
	v_mul_lo_u32 v6, v5, s82                                   // 0000000171F8: D2850006 0000A505
	v_readlane_b32 s82, v3, 3                                  // 000000017200: D2890052 00010703
	s_lshr_b32 s61, s82, 24                                    // 000000017208: 8F3D9852
	s_and_b32 s82, s82, 0xffffff                               // 00000001720C: 8652FF52 00FFFFFF
	s_mul_i32 s82, s82, s71                                    // 000000017214: 92524752
	s_mul_i32 s61, s60, s61                                    // 000000017218: 923D3D3C
	s_add_u32 s82, s82, s61                                    // 00000001721C: 80523D52
	v_mul_lo_u32 v7, v4, s82                                   // 000000017220: D2850007 0000A504
	v_add_u32_e32 v71, v6, v7                                  // 000000017228: 688E0F06
	v_readlane_b32 s82, v3, 4                                  // 00000001722C: D2890052 00010903
	s_lshr_b32 s61, s82, 24                                    // 000000017234: 8F3D9852
	s_and_b32 s82, s82, 0xffffff                               // 000000017238: 8652FF52 00FFFFFF
	s_mul_i32 s82, s82, s71                                    // 000000017240: 92524752
	s_mul_i32 s61, s60, s61                                    // 000000017244: 923D3D3C
	s_add_u32 s82, s82, s61                                    // 000000017248: 80523D52
	v_mul_lo_u32 v6, v5, s82                                   // 00000001724C: D2850006 0000A505
	v_readlane_b32 s82, v3, 5                                  // 000000017254: D2890052 00010B03
	s_lshr_b32 s61, s82, 24                                    // 00000001725C: 8F3D9852
	s_and_b32 s82, s82, 0xffffff                               // 000000017260: 8652FF52 00FFFFFF
	s_mul_i32 s82, s82, s71                                    // 000000017268: 92524752
	s_mul_i32 s61, s60, s61                                    // 00000001726C: 923D3D3C
	s_add_u32 s82, s82, s61                                    // 000000017270: 80523D52
	v_mul_lo_u32 v7, v4, s82                                   // 000000017274: D2850007 0000A504
	v_add_u32_e32 v72, v6, v7                                  // 00000001727C: 68900F06
	v_readlane_b32 s82, v3, 6                                  // 000000017280: D2890052 00010D03
	s_lshr_b32 s61, s82, 24                                    // 000000017288: 8F3D9852
	s_and_b32 s82, s82, 0xffffff                               // 00000001728C: 8652FF52 00FFFFFF
	s_mul_i32 s82, s82, s71                                    // 000000017294: 92524752
	s_mul_i32 s61, s60, s61                                    // 000000017298: 923D3D3C
	s_add_u32 s82, s82, s61                                    // 00000001729C: 80523D52
	v_mul_lo_u32 v6, v5, s82                                   // 0000000172A0: D2850006 0000A505
	v_readlane_b32 s82, v3, 7                                  // 0000000172A8: D2890052 00010F03
	s_lshr_b32 s61, s82, 24                                    // 0000000172B0: 8F3D9852
	s_and_b32 s82, s82, 0xffffff                               // 0000000172B4: 8652FF52 00FFFFFF
	s_mul_i32 s82, s82, s71                                    // 0000000172BC: 92524752
	s_mul_i32 s61, s60, s61                                    // 0000000172C0: 923D3D3C
	s_add_u32 s82, s82, s61                                    // 0000000172C4: 80523D52
	v_mul_lo_u32 v7, v4, s82                                   // 0000000172C8: D2850007 0000A504
	v_add_u32_e32 v73, v6, v7                                  // 0000000172D0: 68920F06
	v_readlane_b32 s82, v3, 8                                  // 0000000172D4: D2890052 00011103
	s_lshr_b32 s61, s82, 24                                    // 0000000172DC: 8F3D9852
	s_and_b32 s82, s82, 0xffffff                               // 0000000172E0: 8652FF52 00FFFFFF
	s_mul_i32 s82, s82, s71                                    // 0000000172E8: 92524752
	s_mul_i32 s61, s60, s61                                    // 0000000172EC: 923D3D3C
	s_add_u32 s82, s82, s61                                    // 0000000172F0: 80523D52
	v_mul_lo_u32 v6, v5, s82                                   // 0000000172F4: D2850006 0000A505
	v_readlane_b32 s82, v3, 9                                  // 0000000172FC: D2890052 00011303
	s_lshr_b32 s61, s82, 24                                    // 000000017304: 8F3D9852
	s_and_b32 s82, s82, 0xffffff                               // 000000017308: 8652FF52 00FFFFFF
	s_mul_i32 s82, s82, s71                                    // 000000017310: 92524752
	s_mul_i32 s61, s60, s61                                    // 000000017314: 923D3D3C
	s_add_u32 s82, s82, s61                                    // 000000017318: 80523D52
	v_mul_lo_u32 v7, v4, s82                                   // 00000001731C: D2850007 0000A504
	v_add_u32_e32 v74, v6, v7                                  // 000000017324: 68940F06
	v_readlane_b32 s82, v3, 10                                 // 000000017328: D2890052 00011503
	s_lshr_b32 s61, s82, 24                                    // 000000017330: 8F3D9852
	s_and_b32 s82, s82, 0xffffff                               // 000000017334: 8652FF52 00FFFFFF
	s_mul_i32 s82, s82, s71                                    // 00000001733C: 92524752
	s_mul_i32 s61, s60, s61                                    // 000000017340: 923D3D3C
	s_add_u32 s82, s82, s61                                    // 000000017344: 80523D52
	v_mul_lo_u32 v6, v5, s82                                   // 000000017348: D2850006 0000A505
	v_readlane_b32 s82, v3, 11                                 // 000000017350: D2890052 00011703
	s_lshr_b32 s61, s82, 24                                    // 000000017358: 8F3D9852
	s_and_b32 s82, s82, 0xffffff                               // 00000001735C: 8652FF52 00FFFFFF
	s_mul_i32 s82, s82, s71                                    // 000000017364: 92524752
	s_mul_i32 s61, s60, s61                                    // 000000017368: 923D3D3C
	s_add_u32 s82, s82, s61                                    // 00000001736C: 80523D52
	v_mul_lo_u32 v7, v4, s82                                   // 000000017370: D2850007 0000A504
	v_add_u32_e32 v75, v6, v7                                  // 000000017378: 68960F06
	v_readlane_b32 s82, v3, 12                                 // 00000001737C: D2890052 00011903
	s_lshr_b32 s61, s82, 24                                    // 000000017384: 8F3D9852
	s_and_b32 s82, s82, 0xffffff                               // 000000017388: 8652FF52 00FFFFFF
	s_mul_i32 s82, s82, s71                                    // 000000017390: 92524752
	s_mul_i32 s61, s60, s61                                    // 000000017394: 923D3D3C
	s_add_u32 s82, s82, s61                                    // 000000017398: 80523D52
	v_mul_lo_u32 v6, v5, s82                                   // 00000001739C: D2850006 0000A505
	v_readlane_b32 s82, v3, 13                                 // 0000000173A4: D2890052 00011B03
	s_lshr_b32 s61, s82, 24                                    // 0000000173AC: 8F3D9852
	s_and_b32 s82, s82, 0xffffff                               // 0000000173B0: 8652FF52 00FFFFFF
	s_mul_i32 s82, s82, s71                                    // 0000000173B8: 92524752
	s_mul_i32 s61, s60, s61                                    // 0000000173BC: 923D3D3C
	s_add_u32 s82, s82, s61                                    // 0000000173C0: 80523D52
	v_mul_lo_u32 v7, v4, s82                                   // 0000000173C4: D2850007 0000A504
	v_add_u32_e32 v76, v6, v7                                  // 0000000173CC: 68980F06
	v_readlane_b32 s82, v3, 14                                 // 0000000173D0: D2890052 00011D03
	s_lshr_b32 s61, s82, 24                                    // 0000000173D8: 8F3D9852
	s_and_b32 s82, s82, 0xffffff                               // 0000000173DC: 8652FF52 00FFFFFF
	s_mul_i32 s82, s82, s71                                    // 0000000173E4: 92524752
	s_mul_i32 s61, s60, s61                                    // 0000000173E8: 923D3D3C
	s_add_u32 s82, s82, s61                                    // 0000000173EC: 80523D52
	v_mul_lo_u32 v6, v5, s82                                   // 0000000173F0: D2850006 0000A505
	v_readlane_b32 s82, v3, 15                                 // 0000000173F8: D2890052 00011F03
	s_lshr_b32 s61, s82, 24                                    // 000000017400: 8F3D9852
	s_and_b32 s82, s82, 0xffffff                               // 000000017404: 8652FF52 00FFFFFF
	s_mul_i32 s82, s82, s71                                    // 00000001740C: 92524752
	s_mul_i32 s61, s60, s61                                    // 000000017410: 923D3D3C
	s_add_u32 s82, s82, s61                                    // 000000017414: 80523D52
	v_mul_lo_u32 v7, v4, s82                                   // 000000017418: D2850007 0000A504
	v_add_u32_e32 v77, v6, v7                                  // 000000017420: 689A0F06
	v_readlane_b32 s82, v3, 16                                 // 000000017424: D2890052 00012103
	s_lshr_b32 s61, s82, 24                                    // 00000001742C: 8F3D9852
	s_and_b32 s82, s82, 0xffffff                               // 000000017430: 8652FF52 00FFFFFF
	s_mul_i32 s82, s82, s71                                    // 000000017438: 92524752
	s_mul_i32 s61, s60, s61                                    // 00000001743C: 923D3D3C
	s_add_u32 s82, s82, s61                                    // 000000017440: 80523D52
	v_mul_lo_u32 v6, v5, s82                                   // 000000017444: D2850006 0000A505
	v_readlane_b32 s82, v3, 17                                 // 00000001744C: D2890052 00012303
	s_lshr_b32 s61, s82, 24                                    // 000000017454: 8F3D9852
	s_and_b32 s82, s82, 0xffffff                               // 000000017458: 8652FF52 00FFFFFF
	s_mul_i32 s82, s82, s71                                    // 000000017460: 92524752
	s_mul_i32 s61, s60, s61                                    // 000000017464: 923D3D3C
	s_add_u32 s82, s82, s61                                    // 000000017468: 80523D52
	v_mul_lo_u32 v7, v4, s82                                   // 00000001746C: D2850007 0000A504
	v_add_u32_e32 v78, v6, v7                                  // 000000017474: 689C0F06
	v_readlane_b32 s82, v3, 18                                 // 000000017478: D2890052 00012503
	s_lshr_b32 s61, s82, 24                                    // 000000017480: 8F3D9852
	s_and_b32 s82, s82, 0xffffff                               // 000000017484: 8652FF52 00FFFFFF
	s_mul_i32 s82, s82, s71                                    // 00000001748C: 92524752
	s_mul_i32 s61, s60, s61                                    // 000000017490: 923D3D3C
	s_add_u32 s82, s82, s61                                    // 000000017494: 80523D52
	v_mul_lo_u32 v6, v5, s82                                   // 000000017498: D2850006 0000A505
	v_readlane_b32 s82, v3, 19                                 // 0000000174A0: D2890052 00012703
	s_lshr_b32 s61, s82, 24                                    // 0000000174A8: 8F3D9852
	s_and_b32 s82, s82, 0xffffff                               // 0000000174AC: 8652FF52 00FFFFFF
	s_mul_i32 s82, s82, s71                                    // 0000000174B4: 92524752
	s_mul_i32 s61, s60, s61                                    // 0000000174B8: 923D3D3C
	s_add_u32 s82, s82, s61                                    // 0000000174BC: 80523D52
	v_mul_lo_u32 v7, v4, s82                                   // 0000000174C0: D2850007 0000A504
	v_add_u32_e32 v79, v6, v7                                  // 0000000174C8: 689E0F06
	v_readlane_b32 s82, v3, 20                                 // 0000000174CC: D2890052 00012903
	s_lshr_b32 s61, s82, 24                                    // 0000000174D4: 8F3D9852
	s_and_b32 s82, s82, 0xffffff                               // 0000000174D8: 8652FF52 00FFFFFF
	s_mul_i32 s82, s82, s71                                    // 0000000174E0: 92524752
	s_mul_i32 s61, s60, s61                                    // 0000000174E4: 923D3D3C
	s_add_u32 s82, s82, s61                                    // 0000000174E8: 80523D52
	v_mul_lo_u32 v6, v5, s82                                   // 0000000174EC: D2850006 0000A505
	v_readlane_b32 s82, v3, 21                                 // 0000000174F4: D2890052 00012B03
	s_lshr_b32 s61, s82, 24                                    // 0000000174FC: 8F3D9852
	s_and_b32 s82, s82, 0xffffff                               // 000000017500: 8652FF52 00FFFFFF
	s_mul_i32 s82, s82, s71                                    // 000000017508: 92524752
	s_mul_i32 s61, s60, s61                                    // 00000001750C: 923D3D3C
	s_add_u32 s82, s82, s61                                    // 000000017510: 80523D52
	v_mul_lo_u32 v7, v4, s82                                   // 000000017514: D2850007 0000A504
	v_add_u32_e32 v80, v6, v7                                  // 00000001751C: 68A00F06
	v_readlane_b32 s82, v3, 22                                 // 000000017520: D2890052 00012D03
	s_lshr_b32 s61, s82, 24                                    // 000000017528: 8F3D9852
	s_and_b32 s82, s82, 0xffffff                               // 00000001752C: 8652FF52 00FFFFFF
	s_mul_i32 s82, s82, s71                                    // 000000017534: 92524752
	s_mul_i32 s61, s60, s61                                    // 000000017538: 923D3D3C
	s_add_u32 s82, s82, s61                                    // 00000001753C: 80523D52
	v_mul_lo_u32 v6, v5, s82                                   // 000000017540: D2850006 0000A505
	v_readlane_b32 s82, v3, 23                                 // 000000017548: D2890052 00012F03
	s_lshr_b32 s61, s82, 24                                    // 000000017550: 8F3D9852
	s_and_b32 s82, s82, 0xffffff                               // 000000017554: 8652FF52 00FFFFFF
	s_mul_i32 s82, s82, s71                                    // 00000001755C: 92524752
	s_mul_i32 s61, s60, s61                                    // 000000017560: 923D3D3C
	s_add_u32 s82, s82, s61                                    // 000000017564: 80523D52
	v_mul_lo_u32 v7, v4, s82                                   // 000000017568: D2850007 0000A504
	v_add_u32_e32 v81, v6, v7                                  // 000000017570: 68A20F06
	v_readlane_b32 s82, v3, 24                                 // 000000017574: D2890052 00013103
	s_lshr_b32 s61, s82, 24                                    // 00000001757C: 8F3D9852
	s_and_b32 s82, s82, 0xffffff                               // 000000017580: 8652FF52 00FFFFFF
	s_mul_i32 s82, s82, s71                                    // 000000017588: 92524752
	s_mul_i32 s61, s60, s61                                    // 00000001758C: 923D3D3C
	s_add_u32 s82, s82, s61                                    // 000000017590: 80523D52
	v_mul_lo_u32 v6, v5, s82                                   // 000000017594: D2850006 0000A505
	v_readlane_b32 s82, v3, 25                                 // 00000001759C: D2890052 00013303
	s_lshr_b32 s61, s82, 24                                    // 0000000175A4: 8F3D9852
	s_and_b32 s82, s82, 0xffffff                               // 0000000175A8: 8652FF52 00FFFFFF
	s_mul_i32 s82, s82, s71                                    // 0000000175B0: 92524752
	s_mul_i32 s61, s60, s61                                    // 0000000175B4: 923D3D3C
	s_add_u32 s82, s82, s61                                    // 0000000175B8: 80523D52
	v_mul_lo_u32 v7, v4, s82                                   // 0000000175BC: D2850007 0000A504
	v_add_u32_e32 v82, v6, v7                                  // 0000000175C4: 68A40F06
	v_readlane_b32 s82, v3, 26                                 // 0000000175C8: D2890052 00013503
	s_lshr_b32 s61, s82, 24                                    // 0000000175D0: 8F3D9852
	s_and_b32 s82, s82, 0xffffff                               // 0000000175D4: 8652FF52 00FFFFFF
	s_mul_i32 s82, s82, s71                                    // 0000000175DC: 92524752
	s_mul_i32 s61, s60, s61                                    // 0000000175E0: 923D3D3C
	s_add_u32 s82, s82, s61                                    // 0000000175E4: 80523D52
	v_mul_lo_u32 v6, v5, s82                                   // 0000000175E8: D2850006 0000A505
	v_readlane_b32 s82, v3, 27                                 // 0000000175F0: D2890052 00013703
	s_lshr_b32 s61, s82, 24                                    // 0000000175F8: 8F3D9852
	s_and_b32 s82, s82, 0xffffff                               // 0000000175FC: 8652FF52 00FFFFFF
	s_mul_i32 s82, s82, s71                                    // 000000017604: 92524752
	s_mul_i32 s61, s60, s61                                    // 000000017608: 923D3D3C
	s_add_u32 s82, s82, s61                                    // 00000001760C: 80523D52
	v_mul_lo_u32 v7, v4, s82                                   // 000000017610: D2850007 0000A504
	v_add_u32_e32 v83, v6, v7                                  // 000000017618: 68A60F06
	v_readlane_b32 s82, v3, 28                                 // 00000001761C: D2890052 00013903
	s_lshr_b32 s61, s82, 24                                    // 000000017624: 8F3D9852
	s_and_b32 s82, s82, 0xffffff                               // 000000017628: 8652FF52 00FFFFFF
	s_mul_i32 s82, s82, s71                                    // 000000017630: 92524752
	s_mul_i32 s61, s60, s61                                    // 000000017634: 923D3D3C
	s_add_u32 s82, s82, s61                                    // 000000017638: 80523D52
	v_mul_lo_u32 v6, v5, s82                                   // 00000001763C: D2850006 0000A505
	v_readlane_b32 s82, v3, 29                                 // 000000017644: D2890052 00013B03
	s_lshr_b32 s61, s82, 24                                    // 00000001764C: 8F3D9852
	s_and_b32 s82, s82, 0xffffff                               // 000000017650: 8652FF52 00FFFFFF
	s_mul_i32 s82, s82, s71                                    // 000000017658: 92524752
	s_mul_i32 s61, s60, s61                                    // 00000001765C: 923D3D3C
	s_add_u32 s82, s82, s61                                    // 000000017660: 80523D52
	v_mul_lo_u32 v7, v4, s82                                   // 000000017664: D2850007 0000A504
	v_add_u32_e32 v84, v6, v7                                  // 00000001766C: 68A80F06
	v_readlane_b32 s82, v3, 30                                 // 000000017670: D2890052 00013D03
	s_lshr_b32 s61, s82, 24                                    // 000000017678: 8F3D9852
	s_and_b32 s82, s82, 0xffffff                               // 00000001767C: 8652FF52 00FFFFFF
	s_mul_i32 s82, s82, s71                                    // 000000017684: 92524752
	s_mul_i32 s61, s60, s61                                    // 000000017688: 923D3D3C
	s_add_u32 s82, s82, s61                                    // 00000001768C: 80523D52
	v_mul_lo_u32 v6, v5, s82                                   // 000000017690: D2850006 0000A505
	v_readlane_b32 s82, v3, 31                                 // 000000017698: D2890052 00013F03
	s_lshr_b32 s61, s82, 24                                    // 0000000176A0: 8F3D9852
	s_and_b32 s82, s82, 0xffffff                               // 0000000176A4: 8652FF52 00FFFFFF
	s_mul_i32 s82, s82, s71                                    // 0000000176AC: 92524752
	s_mul_i32 s61, s60, s61                                    // 0000000176B0: 923D3D3C
	s_add_u32 s82, s82, s61                                    // 0000000176B4: 80523D52
	v_mul_lo_u32 v7, v4, s82                                   // 0000000176B8: D2850007 0000A504
	v_add_u32_e32 v85, v6, v7                                  // 0000000176C0: 68AA0F06
	v_readlane_b32 s82, v3, 32                                 // 0000000176C4: D2890052 00014103
	s_lshr_b32 s61, s82, 24                                    // 0000000176CC: 8F3D9852
	s_and_b32 s82, s82, 0xffffff                               // 0000000176D0: 8652FF52 00FFFFFF
	s_mul_i32 s82, s82, s71                                    // 0000000176D8: 92524752
	s_mul_i32 s61, s60, s61                                    // 0000000176DC: 923D3D3C
	s_add_u32 s82, s82, s61                                    // 0000000176E0: 80523D52
	v_mul_lo_u32 v6, v5, s82                                   // 0000000176E4: D2850006 0000A505
	v_readlane_b32 s82, v3, 33                                 // 0000000176EC: D2890052 00014303
	s_lshr_b32 s61, s82, 24                                    // 0000000176F4: 8F3D9852
	s_and_b32 s82, s82, 0xffffff                               // 0000000176F8: 8652FF52 00FFFFFF
	s_mul_i32 s82, s82, s71                                    // 000000017700: 92524752
	s_mul_i32 s61, s60, s61                                    // 000000017704: 923D3D3C
	s_add_u32 s82, s82, s61                                    // 000000017708: 80523D52
	v_mul_lo_u32 v7, v4, s82                                   // 00000001770C: D2850007 0000A504
	v_add_u32_e32 v86, v6, v7                                  // 000000017714: 68AC0F06
	v_readlane_b32 s82, v3, 34                                 // 000000017718: D2890052 00014503
	s_lshr_b32 s61, s82, 24                                    // 000000017720: 8F3D9852
	s_and_b32 s82, s82, 0xffffff                               // 000000017724: 8652FF52 00FFFFFF
	s_mul_i32 s82, s82, s71                                    // 00000001772C: 92524752
	s_mul_i32 s61, s60, s61                                    // 000000017730: 923D3D3C
	s_add_u32 s82, s82, s61                                    // 000000017734: 80523D52
	v_mul_lo_u32 v6, v5, s82                                   // 000000017738: D2850006 0000A505
	v_readlane_b32 s82, v3, 35                                 // 000000017740: D2890052 00014703
	s_lshr_b32 s61, s82, 24                                    // 000000017748: 8F3D9852
	s_and_b32 s82, s82, 0xffffff                               // 00000001774C: 8652FF52 00FFFFFF
	s_mul_i32 s82, s82, s71                                    // 000000017754: 92524752
	s_mul_i32 s61, s60, s61                                    // 000000017758: 923D3D3C
	s_add_u32 s82, s82, s61                                    // 00000001775C: 80523D52
	v_mul_lo_u32 v7, v4, s82                                   // 000000017760: D2850007 0000A504
	v_add_u32_e32 v87, v6, v7                                  // 000000017768: 68AE0F06
	v_readlane_b32 s82, v3, 36                                 // 00000001776C: D2890052 00014903
	s_lshr_b32 s61, s82, 24                                    // 000000017774: 8F3D9852
	s_and_b32 s82, s82, 0xffffff                               // 000000017778: 8652FF52 00FFFFFF
	s_mul_i32 s82, s82, s71                                    // 000000017780: 92524752
	s_mul_i32 s61, s60, s61                                    // 000000017784: 923D3D3C
	s_add_u32 s82, s82, s61                                    // 000000017788: 80523D52
	v_mul_lo_u32 v6, v5, s82                                   // 00000001778C: D2850006 0000A505
	v_readlane_b32 s82, v3, 37                                 // 000000017794: D2890052 00014B03
	s_lshr_b32 s61, s82, 24                                    // 00000001779C: 8F3D9852
	s_and_b32 s82, s82, 0xffffff                               // 0000000177A0: 8652FF52 00FFFFFF
	s_mul_i32 s82, s82, s71                                    // 0000000177A8: 92524752
	s_mul_i32 s61, s60, s61                                    // 0000000177AC: 923D3D3C
	s_add_u32 s82, s82, s61                                    // 0000000177B0: 80523D52
	v_mul_lo_u32 v7, v4, s82                                   // 0000000177B4: D2850007 0000A504
	v_add_u32_e32 v88, v6, v7                                  // 0000000177BC: 68B00F06
	v_readlane_b32 s82, v3, 38                                 // 0000000177C0: D2890052 00014D03
	s_lshr_b32 s61, s82, 24                                    // 0000000177C8: 8F3D9852
	s_and_b32 s82, s82, 0xffffff                               // 0000000177CC: 8652FF52 00FFFFFF
	s_mul_i32 s82, s82, s71                                    // 0000000177D4: 92524752
	s_mul_i32 s61, s60, s61                                    // 0000000177D8: 923D3D3C
	s_add_u32 s82, s82, s61                                    // 0000000177DC: 80523D52
	v_mul_lo_u32 v6, v5, s82                                   // 0000000177E0: D2850006 0000A505
	v_readlane_b32 s82, v3, 39                                 // 0000000177E8: D2890052 00014F03
	s_lshr_b32 s61, s82, 24                                    // 0000000177F0: 8F3D9852
	s_and_b32 s82, s82, 0xffffff                               // 0000000177F4: 8652FF52 00FFFFFF
	s_mul_i32 s82, s82, s71                                    // 0000000177FC: 92524752
	s_mul_i32 s61, s60, s61                                    // 000000017800: 923D3D3C
	s_add_u32 s82, s82, s61                                    // 000000017804: 80523D52
	v_mul_lo_u32 v7, v4, s82                                   // 000000017808: D2850007 0000A504
	v_add_u32_e32 v89, v6, v7                                  // 000000017810: 68B20F06
	v_and_b32_e32 v4, 31, v0                                   // 000000017814: 2608009F
	v_lshrrev_b32_e32 v4, 1, v4                                // 000000017818: 20080881
	s_cmp_eq_u32 s88, 0                                        // 00000001781C: BF068058
	s_cselect_b32 s61, 2, 4                                    // 000000017820: 853D8482
	v_mul_lo_u32 v4, v4, s61                                   // 000000017824: D2850004 00007B04
	v_and_b32_e64 v5, v0, 1                                    // 00000001782C: D1130005 00010300
	v_add_u32_e32 v4, v4, v5                                   // 000000017834: 68080B04
	v_lshlrev_b32_e32 v4, 2, v4                                // 000000017838: 24080882
	v_add_u32_e32 v70, v70, v4                                 // 00000001783C: 688C0946
	v_add_u32_e32 v71, v71, v4                                 // 000000017840: 688E0947
	v_add_u32_e32 v72, v72, v4                                 // 000000017844: 68900948
	v_add_u32_e32 v73, v73, v4                                 // 000000017848: 68920949
	v_add_u32_e32 v74, v74, v4                                 // 00000001784C: 6894094A
	v_add_u32_e32 v75, v75, v4                                 // 000000017850: 6896094B
	v_add_u32_e32 v76, v76, v4                                 // 000000017854: 6898094C
	v_add_u32_e32 v77, v77, v4                                 // 000000017858: 689A094D
	v_add_u32_e32 v78, v78, v4                                 // 00000001785C: 689C094E
	v_add_u32_e32 v79, v79, v4                                 // 000000017860: 689E094F
	v_add_u32_e32 v80, v80, v4                                 // 000000017864: 68A00950
	v_add_u32_e32 v81, v81, v4                                 // 000000017868: 68A20951
	v_add_u32_e32 v82, v82, v4                                 // 00000001786C: 68A40952
	v_add_u32_e32 v83, v83, v4                                 // 000000017870: 68A60953
	v_add_u32_e32 v84, v84, v4                                 // 000000017874: 68A80954
	v_add_u32_e32 v85, v85, v4                                 // 000000017878: 68AA0955
	v_add_u32_e32 v86, v86, v4                                 // 00000001787C: 68AC0956
	v_add_u32_e32 v87, v87, v4                                 // 000000017880: 68AE0957
	v_add_u32_e32 v88, v88, v4                                 // 000000017884: 68B00958
	v_add_u32_e32 v89, v89, v4                                 // 000000017888: 68B20959
	s_waitcnt lgkmcnt(0)                                       // 00000001788C: BF8CC07F
	s_barrier                                                  // 000000017890: BF8A0000
	ds_read_b32 v92, v21                                       // 000000017894: D86C0000 5C000015
	ds_read_b32 v93, v21 offset:64                             // 00000001789C: D86C0040 5D000015
	ds_read_b32 v96, v21 offset:2176                           // 0000000178A4: D86C0880 60000015
	ds_read_b32 v97, v21 offset:2240                           // 0000000178AC: D86C08C0 61000015
	ds_read_b32 v100, v21 offset:4352                          // 0000000178B4: D86C1100 64000015
	ds_read_b32 v101, v21 offset:4416                          // 0000000178BC: D86C1140 65000015
	ds_read_b32 v104, v21 offset:6528                          // 0000000178C4: D86C1980 68000015
	ds_read_b32 v105, v21 offset:6592                          // 0000000178CC: D86C19C0 69000015
	ds_read_b32 v108, v21 offset:8704                          // 0000000178D4: D86C2200 6C000015
	ds_read_b32 v109, v21 offset:8768                          // 0000000178DC: D86C2240 6D000015
	ds_read_b32 v112, v21 offset:10880                         // 0000000178E4: D86C2A80 70000015
	ds_read_b32 v113, v21 offset:10944                         // 0000000178EC: D86C2AC0 71000015
	ds_read_b32 v116, v21 offset:13056                         // 0000000178F4: D86C3300 74000015
	ds_read_b32 v117, v21 offset:13120                         // 0000000178FC: D86C3340 75000015
	ds_read_b32 v120, v21 offset:15232                         // 000000017904: D86C3B80 78000015
	ds_read_b32 v121, v21 offset:15296                         // 00000001790C: D86C3BC0 79000015
	ds_read_b32 v124, v21 offset:17408                         // 000000017914: D86C4400 7C000015
	ds_read_b32 v125, v21 offset:17472                         // 00000001791C: D86C4440 7D000015
	ds_read_b32 v128, v21 offset:19584                         // 000000017924: D86C4C80 80000015
	ds_read_b32 v129, v21 offset:19648                         // 00000001792C: D86C4CC0 81000015
	ds_read_b32 v132, v21 offset:21760                         // 000000017934: D86C5500 84000015
	ds_read_b32 v133, v21 offset:21824                         // 00000001793C: D86C5540 85000015
	ds_read_b32 v136, v21 offset:23936                         // 000000017944: D86C5D80 88000015
	ds_read_b32 v137, v21 offset:24000                         // 00000001794C: D86C5DC0 89000015
	ds_read_b32 v140, v21 offset:26112                         // 000000017954: D86C6600 8C000015
	ds_read_b32 v141, v21 offset:26176                         // 00000001795C: D86C6640 8D000015
	ds_read_b32 v144, v21 offset:28288                         // 000000017964: D86C6E80 90000015
	ds_read_b32 v145, v21 offset:28352                         // 00000001796C: D86C6EC0 91000015
	ds_read_b32 v148, v21 offset:30464                         // 000000017974: D86C7700 94000015
	ds_read_b32 v149, v21 offset:30528                         // 00000001797C: D86C7740 95000015
	ds_read_b32 v152, v21 offset:32640                         // 000000017984: D86C7F80 98000015
	ds_read_b32 v153, v21 offset:32704                         // 00000001798C: D86C7FC0 99000015
	ds_read_b32 v156, v21 offset:34816                         // 000000017994: D86C8800 9C000015
	ds_read_b32 v157, v21 offset:34880                         // 00000001799C: D86C8840 9D000015
	ds_read_b32 v160, v21 offset:36992                         // 0000000179A4: D86C9080 A0000015
	ds_read_b32 v161, v21 offset:37056                         // 0000000179AC: D86C90C0 A1000015
	ds_read_b32 v164, v21 offset:39168                         // 0000000179B4: D86C9900 A4000015
	ds_read_b32 v165, v21 offset:39232                         // 0000000179BC: D86C9940 A5000015
	ds_read_b32 v168, v21 offset:41344                         // 0000000179C4: D86CA180 A8000015
	ds_read_b32 v169, v21 offset:41408                         // 0000000179CC: D86CA1C0 A9000015
	s_waitcnt lgkmcnt(0)                                       // 0000000179D4: BF8CC07F
	s_mov_b32 s36, -1                                          // 0000000179D8: BEA400C1
	s_mov_b32 s37, -1                                          // 0000000179DC: BEA500C1
	v_mov_b32_e32 v7, 0                                        // 0000000179E0: 7E0E0280
	s_mov_b64 exec, s[36:37]                                   // 0000000179E4: BEFE0124
	v_mov_b32_e32 v6, v70                                      // 0000000179E8: 7E0C0346
	s_mov_b64 s[60:61], 0                                      // 0000000179EC: BEBC0180
	v_readlane_b32 s82, v3, 0                                  // 0000000179F0: D2890052 00010103
	s_and_b32 s82, s82, 0xffffff                               // 0000000179F8: 8652FF52 00FFFFFF
	s_cmp_lt_u32 s82, s66                                      // 000000017A00: BF0A4252
	s_cselect_b32 s20, s36, s60                                // 000000017A04: 85143C24
	v_readlane_b32 s82, v3, 1                                  // 000000017A08: D2890052 00010303
	s_and_b32 s82, s82, 0xffffff                               // 000000017A10: 8652FF52 00FFFFFF
	s_cmp_lt_u32 s82, s66                                      // 000000017A18: BF0A4252
	s_cselect_b32 s21, s36, s60                                // 000000017A1C: 85153C24
	s_mov_b64 exec, s[20:21]                                   // 000000017A20: BEFE0114
	global_atomic_add_f32 v6, v92, s[8:9]                      // 000000017A24: DD348000 00085C06
	global_atomic_add_f32 v6, v96, s[8:9] offset:256           // 000000017A2C: DD348100 00086006
	s_mov_b64 exec, s[36:37]                                   // 000000017A34: BEFE0124
	v_mov_b32_e32 v6, v71                                      // 000000017A38: 7E0C0347
	s_mov_b64 s[60:61], 0                                      // 000000017A3C: BEBC0180
	v_readlane_b32 s82, v3, 2                                  // 000000017A40: D2890052 00010503
	s_and_b32 s82, s82, 0xffffff                               // 000000017A48: 8652FF52 00FFFFFF
	s_cmp_lt_u32 s82, s66                                      // 000000017A50: BF0A4252
	s_cselect_b32 s20, s36, s60                                // 000000017A54: 85143C24
	v_readlane_b32 s82, v3, 3                                  // 000000017A58: D2890052 00010703
	s_and_b32 s82, s82, 0xffffff                               // 000000017A60: 8652FF52 00FFFFFF
	s_cmp_lt_u32 s82, s66                                      // 000000017A68: BF0A4252
	s_cselect_b32 s21, s36, s60                                // 000000017A6C: 85153C24
	s_mov_b64 exec, s[20:21]                                   // 000000017A70: BEFE0114
	global_atomic_add_f32 v6, v93, s[8:9]                      // 000000017A74: DD348000 00085D06
	global_atomic_add_f32 v6, v97, s[8:9] offset:256           // 000000017A7C: DD348100 00086106
	s_mov_b64 exec, s[36:37]                                   // 000000017A84: BEFE0124
	v_mov_b32_e32 v6, v72                                      // 000000017A88: 7E0C0348
	s_mov_b64 s[60:61], 0                                      // 000000017A8C: BEBC0180
	v_readlane_b32 s82, v3, 4                                  // 000000017A90: D2890052 00010903
	s_and_b32 s82, s82, 0xffffff                               // 000000017A98: 8652FF52 00FFFFFF
	s_cmp_lt_u32 s82, s66                                      // 000000017AA0: BF0A4252
	s_cselect_b32 s20, s36, s60                                // 000000017AA4: 85143C24
	v_readlane_b32 s82, v3, 5                                  // 000000017AA8: D2890052 00010B03
	s_and_b32 s82, s82, 0xffffff                               // 000000017AB0: 8652FF52 00FFFFFF
	s_cmp_lt_u32 s82, s66                                      // 000000017AB8: BF0A4252
	s_cselect_b32 s21, s36, s60                                // 000000017ABC: 85153C24
	s_mov_b64 exec, s[20:21]                                   // 000000017AC0: BEFE0114
	global_atomic_add_f32 v6, v100, s[8:9]                     // 000000017AC4: DD348000 00086406
	global_atomic_add_f32 v6, v104, s[8:9] offset:256          // 000000017ACC: DD348100 00086806
	s_mov_b64 exec, s[36:37]                                   // 000000017AD4: BEFE0124
	v_mov_b32_e32 v6, v73                                      // 000000017AD8: 7E0C0349
	s_mov_b64 s[60:61], 0                                      // 000000017ADC: BEBC0180
	v_readlane_b32 s82, v3, 6                                  // 000000017AE0: D2890052 00010D03
	s_and_b32 s82, s82, 0xffffff                               // 000000017AE8: 8652FF52 00FFFFFF
	s_cmp_lt_u32 s82, s66                                      // 000000017AF0: BF0A4252
	s_cselect_b32 s20, s36, s60                                // 000000017AF4: 85143C24
	v_readlane_b32 s82, v3, 7                                  // 000000017AF8: D2890052 00010F03
	s_and_b32 s82, s82, 0xffffff                               // 000000017B00: 8652FF52 00FFFFFF
	s_cmp_lt_u32 s82, s66                                      // 000000017B08: BF0A4252
	s_cselect_b32 s21, s36, s60                                // 000000017B0C: 85153C24
	s_mov_b64 exec, s[20:21]                                   // 000000017B10: BEFE0114
	global_atomic_add_f32 v6, v101, s[8:9]                     // 000000017B14: DD348000 00086506
	global_atomic_add_f32 v6, v105, s[8:9] offset:256          // 000000017B1C: DD348100 00086906
	s_mov_b64 exec, s[36:37]                                   // 000000017B24: BEFE0124
	v_mov_b32_e32 v6, v74                                      // 000000017B28: 7E0C034A
	s_mov_b64 s[60:61], 0                                      // 000000017B2C: BEBC0180
	v_readlane_b32 s82, v3, 8                                  // 000000017B30: D2890052 00011103
	s_and_b32 s82, s82, 0xffffff                               // 000000017B38: 8652FF52 00FFFFFF
	s_cmp_lt_u32 s82, s66                                      // 000000017B40: BF0A4252
	s_cselect_b32 s20, s36, s60                                // 000000017B44: 85143C24
	v_readlane_b32 s82, v3, 9                                  // 000000017B48: D2890052 00011303
	s_and_b32 s82, s82, 0xffffff                               // 000000017B50: 8652FF52 00FFFFFF
	s_cmp_lt_u32 s82, s66                                      // 000000017B58: BF0A4252
	s_cselect_b32 s21, s36, s60                                // 000000017B5C: 85153C24
	s_mov_b64 exec, s[20:21]                                   // 000000017B60: BEFE0114
	global_atomic_add_f32 v6, v108, s[8:9]                     // 000000017B64: DD348000 00086C06
	global_atomic_add_f32 v6, v112, s[8:9] offset:256          // 000000017B6C: DD348100 00087006
	s_mov_b64 exec, s[36:37]                                   // 000000017B74: BEFE0124
	v_mov_b32_e32 v6, v75                                      // 000000017B78: 7E0C034B
	s_mov_b64 s[60:61], 0                                      // 000000017B7C: BEBC0180
	v_readlane_b32 s82, v3, 10                                 // 000000017B80: D2890052 00011503
	s_and_b32 s82, s82, 0xffffff                               // 000000017B88: 8652FF52 00FFFFFF
	s_cmp_lt_u32 s82, s66                                      // 000000017B90: BF0A4252
	s_cselect_b32 s20, s36, s60                                // 000000017B94: 85143C24
	v_readlane_b32 s82, v3, 11                                 // 000000017B98: D2890052 00011703
	s_and_b32 s82, s82, 0xffffff                               // 000000017BA0: 8652FF52 00FFFFFF
	s_cmp_lt_u32 s82, s66                                      // 000000017BA8: BF0A4252
	s_cselect_b32 s21, s36, s60                                // 000000017BAC: 85153C24
	s_mov_b64 exec, s[20:21]                                   // 000000017BB0: BEFE0114
	global_atomic_add_f32 v6, v109, s[8:9]                     // 000000017BB4: DD348000 00086D06
	global_atomic_add_f32 v6, v113, s[8:9] offset:256          // 000000017BBC: DD348100 00087106
	s_mov_b64 exec, s[36:37]                                   // 000000017BC4: BEFE0124
	v_mov_b32_e32 v6, v76                                      // 000000017BC8: 7E0C034C
	s_mov_b64 s[60:61], 0                                      // 000000017BCC: BEBC0180
	v_readlane_b32 s82, v3, 12                                 // 000000017BD0: D2890052 00011903
	s_and_b32 s82, s82, 0xffffff                               // 000000017BD8: 8652FF52 00FFFFFF
	s_cmp_lt_u32 s82, s66                                      // 000000017BE0: BF0A4252
	s_cselect_b32 s20, s36, s60                                // 000000017BE4: 85143C24
	v_readlane_b32 s82, v3, 13                                 // 000000017BE8: D2890052 00011B03
	s_and_b32 s82, s82, 0xffffff                               // 000000017BF0: 8652FF52 00FFFFFF
	s_cmp_lt_u32 s82, s66                                      // 000000017BF8: BF0A4252
	s_cselect_b32 s21, s36, s60                                // 000000017BFC: 85153C24
	s_mov_b64 exec, s[20:21]                                   // 000000017C00: BEFE0114
	global_atomic_add_f32 v6, v116, s[8:9]                     // 000000017C04: DD348000 00087406
	global_atomic_add_f32 v6, v120, s[8:9] offset:256          // 000000017C0C: DD348100 00087806
	s_mov_b64 exec, s[36:37]                                   // 000000017C14: BEFE0124
	v_mov_b32_e32 v6, v77                                      // 000000017C18: 7E0C034D
	s_mov_b64 s[60:61], 0                                      // 000000017C1C: BEBC0180
	v_readlane_b32 s82, v3, 14                                 // 000000017C20: D2890052 00011D03
	s_and_b32 s82, s82, 0xffffff                               // 000000017C28: 8652FF52 00FFFFFF
	s_cmp_lt_u32 s82, s66                                      // 000000017C30: BF0A4252
	s_cselect_b32 s20, s36, s60                                // 000000017C34: 85143C24
	v_readlane_b32 s82, v3, 15                                 // 000000017C38: D2890052 00011F03
	s_and_b32 s82, s82, 0xffffff                               // 000000017C40: 8652FF52 00FFFFFF
	s_cmp_lt_u32 s82, s66                                      // 000000017C48: BF0A4252
	s_cselect_b32 s21, s36, s60                                // 000000017C4C: 85153C24
	s_mov_b64 exec, s[20:21]                                   // 000000017C50: BEFE0114
	global_atomic_add_f32 v6, v117, s[8:9]                     // 000000017C54: DD348000 00087506
	global_atomic_add_f32 v6, v121, s[8:9] offset:256          // 000000017C5C: DD348100 00087906
	s_mov_b64 exec, s[36:37]                                   // 000000017C64: BEFE0124
	v_mov_b32_e32 v6, v78                                      // 000000017C68: 7E0C034E
	s_mov_b64 s[60:61], 0                                      // 000000017C6C: BEBC0180
	v_readlane_b32 s82, v3, 16                                 // 000000017C70: D2890052 00012103
	s_and_b32 s82, s82, 0xffffff                               // 000000017C78: 8652FF52 00FFFFFF
	s_cmp_lt_u32 s82, s66                                      // 000000017C80: BF0A4252
	s_cselect_b32 s20, s36, s60                                // 000000017C84: 85143C24
	v_readlane_b32 s82, v3, 17                                 // 000000017C88: D2890052 00012303
	s_and_b32 s82, s82, 0xffffff                               // 000000017C90: 8652FF52 00FFFFFF
	s_cmp_lt_u32 s82, s66                                      // 000000017C98: BF0A4252
	s_cselect_b32 s21, s36, s60                                // 000000017C9C: 85153C24
	s_mov_b64 exec, s[20:21]                                   // 000000017CA0: BEFE0114
	global_atomic_add_f32 v6, v124, s[8:9]                     // 000000017CA4: DD348000 00087C06
	global_atomic_add_f32 v6, v128, s[8:9] offset:256          // 000000017CAC: DD348100 00088006
	s_mov_b64 exec, s[36:37]                                   // 000000017CB4: BEFE0124
	v_mov_b32_e32 v6, v79                                      // 000000017CB8: 7E0C034F
	s_mov_b64 s[60:61], 0                                      // 000000017CBC: BEBC0180
	v_readlane_b32 s82, v3, 18                                 // 000000017CC0: D2890052 00012503
	s_and_b32 s82, s82, 0xffffff                               // 000000017CC8: 8652FF52 00FFFFFF
	s_cmp_lt_u32 s82, s66                                      // 000000017CD0: BF0A4252
	s_cselect_b32 s20, s36, s60                                // 000000017CD4: 85143C24
	v_readlane_b32 s82, v3, 19                                 // 000000017CD8: D2890052 00012703
	s_and_b32 s82, s82, 0xffffff                               // 000000017CE0: 8652FF52 00FFFFFF
	s_cmp_lt_u32 s82, s66                                      // 000000017CE8: BF0A4252
	s_cselect_b32 s21, s36, s60                                // 000000017CEC: 85153C24
	s_mov_b64 exec, s[20:21]                                   // 000000017CF0: BEFE0114
	global_atomic_add_f32 v6, v125, s[8:9]                     // 000000017CF4: DD348000 00087D06
	global_atomic_add_f32 v6, v129, s[8:9] offset:256          // 000000017CFC: DD348100 00088106
	s_mov_b64 exec, s[36:37]                                   // 000000017D04: BEFE0124
	v_mov_b32_e32 v6, v80                                      // 000000017D08: 7E0C0350
	s_mov_b64 s[60:61], 0                                      // 000000017D0C: BEBC0180
	v_readlane_b32 s82, v3, 20                                 // 000000017D10: D2890052 00012903
	s_and_b32 s82, s82, 0xffffff                               // 000000017D18: 8652FF52 00FFFFFF
	s_cmp_lt_u32 s82, s66                                      // 000000017D20: BF0A4252
	s_cselect_b32 s20, s36, s60                                // 000000017D24: 85143C24
	v_readlane_b32 s82, v3, 21                                 // 000000017D28: D2890052 00012B03
	s_and_b32 s82, s82, 0xffffff                               // 000000017D30: 8652FF52 00FFFFFF
	s_cmp_lt_u32 s82, s66                                      // 000000017D38: BF0A4252
	s_cselect_b32 s21, s36, s60                                // 000000017D3C: 85153C24
	s_mov_b64 exec, s[20:21]                                   // 000000017D40: BEFE0114
	global_atomic_add_f32 v6, v132, s[8:9]                     // 000000017D44: DD348000 00088406
	global_atomic_add_f32 v6, v136, s[8:9] offset:256          // 000000017D4C: DD348100 00088806
	s_mov_b64 exec, s[36:37]                                   // 000000017D54: BEFE0124
	v_mov_b32_e32 v6, v81                                      // 000000017D58: 7E0C0351
	s_mov_b64 s[60:61], 0                                      // 000000017D5C: BEBC0180
	v_readlane_b32 s82, v3, 22                                 // 000000017D60: D2890052 00012D03
	s_and_b32 s82, s82, 0xffffff                               // 000000017D68: 8652FF52 00FFFFFF
	s_cmp_lt_u32 s82, s66                                      // 000000017D70: BF0A4252
	s_cselect_b32 s20, s36, s60                                // 000000017D74: 85143C24
	v_readlane_b32 s82, v3, 23                                 // 000000017D78: D2890052 00012F03
	s_and_b32 s82, s82, 0xffffff                               // 000000017D80: 8652FF52 00FFFFFF
	s_cmp_lt_u32 s82, s66                                      // 000000017D88: BF0A4252
	s_cselect_b32 s21, s36, s60                                // 000000017D8C: 85153C24
	s_mov_b64 exec, s[20:21]                                   // 000000017D90: BEFE0114
	global_atomic_add_f32 v6, v133, s[8:9]                     // 000000017D94: DD348000 00088506
	global_atomic_add_f32 v6, v137, s[8:9] offset:256          // 000000017D9C: DD348100 00088906
	s_mov_b64 exec, s[36:37]                                   // 000000017DA4: BEFE0124
	v_mov_b32_e32 v6, v82                                      // 000000017DA8: 7E0C0352
	s_mov_b64 s[60:61], 0                                      // 000000017DAC: BEBC0180
	v_readlane_b32 s82, v3, 24                                 // 000000017DB0: D2890052 00013103
	s_and_b32 s82, s82, 0xffffff                               // 000000017DB8: 8652FF52 00FFFFFF
	s_cmp_lt_u32 s82, s66                                      // 000000017DC0: BF0A4252
	s_cselect_b32 s20, s36, s60                                // 000000017DC4: 85143C24
	v_readlane_b32 s82, v3, 25                                 // 000000017DC8: D2890052 00013303
	s_and_b32 s82, s82, 0xffffff                               // 000000017DD0: 8652FF52 00FFFFFF
	s_cmp_lt_u32 s82, s66                                      // 000000017DD8: BF0A4252
	s_cselect_b32 s21, s36, s60                                // 000000017DDC: 85153C24
	s_mov_b64 exec, s[20:21]                                   // 000000017DE0: BEFE0114
	global_atomic_add_f32 v6, v140, s[8:9]                     // 000000017DE4: DD348000 00088C06
	global_atomic_add_f32 v6, v144, s[8:9] offset:256          // 000000017DEC: DD348100 00089006
	s_mov_b64 exec, s[36:37]                                   // 000000017DF4: BEFE0124
	v_mov_b32_e32 v6, v83                                      // 000000017DF8: 7E0C0353
	s_mov_b64 s[60:61], 0                                      // 000000017DFC: BEBC0180
	v_readlane_b32 s82, v3, 26                                 // 000000017E00: D2890052 00013503
	s_and_b32 s82, s82, 0xffffff                               // 000000017E08: 8652FF52 00FFFFFF
	s_cmp_lt_u32 s82, s66                                      // 000000017E10: BF0A4252
	s_cselect_b32 s20, s36, s60                                // 000000017E14: 85143C24
	v_readlane_b32 s82, v3, 27                                 // 000000017E18: D2890052 00013703
	s_and_b32 s82, s82, 0xffffff                               // 000000017E20: 8652FF52 00FFFFFF
	s_cmp_lt_u32 s82, s66                                      // 000000017E28: BF0A4252
	s_cselect_b32 s21, s36, s60                                // 000000017E2C: 85153C24
	s_mov_b64 exec, s[20:21]                                   // 000000017E30: BEFE0114
	global_atomic_add_f32 v6, v141, s[8:9]                     // 000000017E34: DD348000 00088D06
	global_atomic_add_f32 v6, v145, s[8:9] offset:256          // 000000017E3C: DD348100 00089106
	s_mov_b64 exec, s[36:37]                                   // 000000017E44: BEFE0124
	v_mov_b32_e32 v6, v84                                      // 000000017E48: 7E0C0354
	s_mov_b64 s[60:61], 0                                      // 000000017E4C: BEBC0180
	v_readlane_b32 s82, v3, 28                                 // 000000017E50: D2890052 00013903
	s_and_b32 s82, s82, 0xffffff                               // 000000017E58: 8652FF52 00FFFFFF
	s_cmp_lt_u32 s82, s66                                      // 000000017E60: BF0A4252
	s_cselect_b32 s20, s36, s60                                // 000000017E64: 85143C24
	v_readlane_b32 s82, v3, 29                                 // 000000017E68: D2890052 00013B03
	s_and_b32 s82, s82, 0xffffff                               // 000000017E70: 8652FF52 00FFFFFF
	s_cmp_lt_u32 s82, s66                                      // 000000017E78: BF0A4252
	s_cselect_b32 s21, s36, s60                                // 000000017E7C: 85153C24
	s_mov_b64 exec, s[20:21]                                   // 000000017E80: BEFE0114
	global_atomic_add_f32 v6, v148, s[8:9]                     // 000000017E84: DD348000 00089406
	global_atomic_add_f32 v6, v152, s[8:9] offset:256          // 000000017E8C: DD348100 00089806
	s_mov_b64 exec, s[36:37]                                   // 000000017E94: BEFE0124
	v_mov_b32_e32 v6, v85                                      // 000000017E98: 7E0C0355
	s_mov_b64 s[60:61], 0                                      // 000000017E9C: BEBC0180
	v_readlane_b32 s82, v3, 30                                 // 000000017EA0: D2890052 00013D03
	s_and_b32 s82, s82, 0xffffff                               // 000000017EA8: 8652FF52 00FFFFFF
	s_cmp_lt_u32 s82, s66                                      // 000000017EB0: BF0A4252
	s_cselect_b32 s20, s36, s60                                // 000000017EB4: 85143C24
	v_readlane_b32 s82, v3, 31                                 // 000000017EB8: D2890052 00013F03
	s_and_b32 s82, s82, 0xffffff                               // 000000017EC0: 8652FF52 00FFFFFF
	s_cmp_lt_u32 s82, s66                                      // 000000017EC8: BF0A4252
	s_cselect_b32 s21, s36, s60                                // 000000017ECC: 85153C24
	s_mov_b64 exec, s[20:21]                                   // 000000017ED0: BEFE0114
	global_atomic_add_f32 v6, v149, s[8:9]                     // 000000017ED4: DD348000 00089506
	global_atomic_add_f32 v6, v153, s[8:9] offset:256          // 000000017EDC: DD348100 00089906
	s_mov_b64 exec, s[36:37]                                   // 000000017EE4: BEFE0124
	v_mov_b32_e32 v6, v86                                      // 000000017EE8: 7E0C0356
	s_mov_b64 s[60:61], 0                                      // 000000017EEC: BEBC0180
	v_readlane_b32 s82, v3, 32                                 // 000000017EF0: D2890052 00014103
	s_and_b32 s82, s82, 0xffffff                               // 000000017EF8: 8652FF52 00FFFFFF
	s_cmp_lt_u32 s82, s66                                      // 000000017F00: BF0A4252
	s_cselect_b32 s20, s36, s60                                // 000000017F04: 85143C24
	v_readlane_b32 s82, v3, 33                                 // 000000017F08: D2890052 00014303
	s_and_b32 s82, s82, 0xffffff                               // 000000017F10: 8652FF52 00FFFFFF
	s_cmp_lt_u32 s82, s66                                      // 000000017F18: BF0A4252
	s_cselect_b32 s21, s36, s60                                // 000000017F1C: 85153C24
	s_mov_b64 exec, s[20:21]                                   // 000000017F20: BEFE0114
	global_atomic_add_f32 v6, v156, s[8:9]                     // 000000017F24: DD348000 00089C06
	global_atomic_add_f32 v6, v160, s[8:9] offset:256          // 000000017F2C: DD348100 0008A006
	s_mov_b64 exec, s[36:37]                                   // 000000017F34: BEFE0124
	v_mov_b32_e32 v6, v87                                      // 000000017F38: 7E0C0357
	s_mov_b64 s[60:61], 0                                      // 000000017F3C: BEBC0180
	v_readlane_b32 s82, v3, 34                                 // 000000017F40: D2890052 00014503
	s_and_b32 s82, s82, 0xffffff                               // 000000017F48: 8652FF52 00FFFFFF
	s_cmp_lt_u32 s82, s66                                      // 000000017F50: BF0A4252
	s_cselect_b32 s20, s36, s60                                // 000000017F54: 85143C24
	v_readlane_b32 s82, v3, 35                                 // 000000017F58: D2890052 00014703
	s_and_b32 s82, s82, 0xffffff                               // 000000017F60: 8652FF52 00FFFFFF
	s_cmp_lt_u32 s82, s66                                      // 000000017F68: BF0A4252
	s_cselect_b32 s21, s36, s60                                // 000000017F6C: 85153C24
	s_mov_b64 exec, s[20:21]                                   // 000000017F70: BEFE0114
	global_atomic_add_f32 v6, v157, s[8:9]                     // 000000017F74: DD348000 00089D06
	global_atomic_add_f32 v6, v161, s[8:9] offset:256          // 000000017F7C: DD348100 0008A106
	s_mov_b64 exec, s[36:37]                                   // 000000017F84: BEFE0124
	v_mov_b32_e32 v6, v88                                      // 000000017F88: 7E0C0358
	s_mov_b64 s[60:61], 0                                      // 000000017F8C: BEBC0180
	v_readlane_b32 s82, v3, 36                                 // 000000017F90: D2890052 00014903
	s_and_b32 s82, s82, 0xffffff                               // 000000017F98: 8652FF52 00FFFFFF
	s_cmp_lt_u32 s82, s66                                      // 000000017FA0: BF0A4252
	s_cselect_b32 s20, s36, s60                                // 000000017FA4: 85143C24
	v_readlane_b32 s82, v3, 37                                 // 000000017FA8: D2890052 00014B03
	s_and_b32 s82, s82, 0xffffff                               // 000000017FB0: 8652FF52 00FFFFFF
	s_cmp_lt_u32 s82, s66                                      // 000000017FB8: BF0A4252
	s_cselect_b32 s21, s36, s60                                // 000000017FBC: 85153C24
	s_mov_b64 exec, s[20:21]                                   // 000000017FC0: BEFE0114
	global_atomic_add_f32 v6, v164, s[8:9]                     // 000000017FC4: DD348000 0008A406
	global_atomic_add_f32 v6, v168, s[8:9] offset:256          // 000000017FCC: DD348100 0008A806
	s_mov_b64 exec, s[36:37]                                   // 000000017FD4: BEFE0124
	v_mov_b32_e32 v6, v89                                      // 000000017FD8: 7E0C0359
	s_mov_b64 s[60:61], 0                                      // 000000017FDC: BEBC0180
	v_readlane_b32 s82, v3, 38                                 // 000000017FE0: D2890052 00014D03
	s_and_b32 s82, s82, 0xffffff                               // 000000017FE8: 8652FF52 00FFFFFF
	s_cmp_lt_u32 s82, s66                                      // 000000017FF0: BF0A4252
	s_cselect_b32 s20, s36, s60                                // 000000017FF4: 85143C24
	v_readlane_b32 s82, v3, 39                                 // 000000017FF8: D2890052 00014F03
	s_and_b32 s82, s82, 0xffffff                               // 000000018000: 8652FF52 00FFFFFF
	s_cmp_lt_u32 s82, s66                                      // 000000018008: BF0A4252
	s_cselect_b32 s21, s36, s60                                // 00000001800C: 85153C24
	s_mov_b64 exec, s[20:21]                                   // 000000018010: BEFE0114
	global_atomic_add_f32 v6, v165, s[8:9]                     // 000000018014: DD348000 0008A506
	global_atomic_add_f32 v6, v169, s[8:9] offset:256          // 00000001801C: DD348100 0008A906
	s_mov_b64 exec, s[36:37]                                   // 000000018024: BEFE0124
	ds_write_b64 v20, v[94:95]                                 // 000000018028: D89A0000 00005E14
	ds_write_b64 v20, v[98:99] offset:4352                     // 000000018030: D89A1100 00006214
	ds_write_b64 v20, v[102:103] offset:8704                   // 000000018038: D89A2200 00006614
	ds_write_b64 v20, v[106:107] offset:13056                  // 000000018040: D89A3300 00006A14
	ds_write_b64 v20, v[110:111] offset:17408                  // 000000018048: D89A4400 00006E14
	ds_write_b64 v20, v[114:115] offset:21760                  // 000000018050: D89A5500 00007214
	ds_write_b64 v20, v[118:119] offset:26112                  // 000000018058: D89A6600 00007614
	ds_write_b64 v20, v[122:123] offset:30464                  // 000000018060: D89A7700 00007A14
	ds_write_b64 v20, v[126:127] offset:34816                  // 000000018068: D89A8800 00007E14
	ds_write_b64 v20, v[130:131] offset:39168                  // 000000018070: D89A9900 00008214
	ds_write_b64 v20, v[134:135] offset:2176                   // 000000018078: D89A0880 00008614
	ds_write_b64 v20, v[138:139] offset:6528                   // 000000018080: D89A1980 00008A14
	ds_write_b64 v20, v[142:143] offset:10880                  // 000000018088: D89A2A80 00008E14
	ds_write_b64 v20, v[146:147] offset:15232                  // 000000018090: D89A3B80 00009214
	ds_write_b64 v20, v[150:151] offset:19584                  // 000000018098: D89A4C80 00009614
	ds_write_b64 v20, v[154:155] offset:23936                  // 0000000180A0: D89A5D80 00009A14
	ds_write_b64 v20, v[158:159] offset:28288                  // 0000000180A8: D89A6E80 00009E14
	ds_write_b64 v20, v[162:163] offset:32640                  // 0000000180B0: D89A7F80 0000A214
	ds_write_b64 v20, v[166:167] offset:36992                  // 0000000180B8: D89A9080 0000A614
	ds_write_b64 v20, v[170:171] offset:41344                  // 0000000180C0: D89AA180 0000AA14
	s_waitcnt lgkmcnt(0)                                       // 0000000180C8: BF8CC07F
	s_barrier                                                  // 0000000180CC: BF8A0000
	ds_read_b32 v94, v21                                       // 0000000180D0: D86C0000 5E000015
	ds_read_b32 v95, v21 offset:64                             // 0000000180D8: D86C0040 5F000015
	ds_read_b32 v98, v21 offset:2176                           // 0000000180E0: D86C0880 62000015
	ds_read_b32 v99, v21 offset:2240                           // 0000000180E8: D86C08C0 63000015
	ds_read_b32 v102, v21 offset:4352                          // 0000000180F0: D86C1100 66000015
	ds_read_b32 v103, v21 offset:4416                          // 0000000180F8: D86C1140 67000015
	ds_read_b32 v106, v21 offset:6528                          // 000000018100: D86C1980 6A000015
	ds_read_b32 v107, v21 offset:6592                          // 000000018108: D86C19C0 6B000015
	ds_read_b32 v110, v21 offset:8704                          // 000000018110: D86C2200 6E000015
	ds_read_b32 v111, v21 offset:8768                          // 000000018118: D86C2240 6F000015
	ds_read_b32 v114, v21 offset:10880                         // 000000018120: D86C2A80 72000015
	ds_read_b32 v115, v21 offset:10944                         // 000000018128: D86C2AC0 73000015
	ds_read_b32 v118, v21 offset:13056                         // 000000018130: D86C3300 76000015
	ds_read_b32 v119, v21 offset:13120                         // 000000018138: D86C3340 77000015
	ds_read_b32 v122, v21 offset:15232                         // 000000018140: D86C3B80 7A000015
	ds_read_b32 v123, v21 offset:15296                         // 000000018148: D86C3BC0 7B000015
	ds_read_b32 v126, v21 offset:17408                         // 000000018150: D86C4400 7E000015
	ds_read_b32 v127, v21 offset:17472                         // 000000018158: D86C4440 7F000015
	ds_read_b32 v130, v21 offset:19584                         // 000000018160: D86C4C80 82000015
	ds_read_b32 v131, v21 offset:19648                         // 000000018168: D86C4CC0 83000015
	ds_read_b32 v134, v21 offset:21760                         // 000000018170: D86C5500 86000015
	ds_read_b32 v135, v21 offset:21824                         // 000000018178: D86C5540 87000015
	ds_read_b32 v138, v21 offset:23936                         // 000000018180: D86C5D80 8A000015
	ds_read_b32 v139, v21 offset:24000                         // 000000018188: D86C5DC0 8B000015
	ds_read_b32 v142, v21 offset:26112                         // 000000018190: D86C6600 8E000015
	ds_read_b32 v143, v21 offset:26176                         // 000000018198: D86C6640 8F000015
	ds_read_b32 v146, v21 offset:28288                         // 0000000181A0: D86C6E80 92000015
	ds_read_b32 v147, v21 offset:28352                         // 0000000181A8: D86C6EC0 93000015
	ds_read_b32 v150, v21 offset:30464                         // 0000000181B0: D86C7700 96000015
	ds_read_b32 v151, v21 offset:30528                         // 0000000181B8: D86C7740 97000015
	ds_read_b32 v154, v21 offset:32640                         // 0000000181C0: D86C7F80 9A000015
	ds_read_b32 v155, v21 offset:32704                         // 0000000181C8: D86C7FC0 9B000015
	ds_read_b32 v158, v21 offset:34816                         // 0000000181D0: D86C8800 9E000015
	ds_read_b32 v159, v21 offset:34880                         // 0000000181D8: D86C8840 9F000015
	ds_read_b32 v162, v21 offset:36992                         // 0000000181E0: D86C9080 A2000015
	ds_read_b32 v163, v21 offset:37056                         // 0000000181E8: D86C90C0 A3000015
	ds_read_b32 v166, v21 offset:39168                         // 0000000181F0: D86C9900 A6000015
	ds_read_b32 v167, v21 offset:39232                         // 0000000181F8: D86C9940 A7000015
	ds_read_b32 v170, v21 offset:41344                         // 000000018200: D86CA180 AA000015
	ds_read_b32 v171, v21 offset:41408                         // 000000018208: D86CA1C0 AB000015
	s_waitcnt lgkmcnt(0)                                       // 000000018210: BF8CC07F
	v_mov_b32_e32 v7, 0                                        // 000000018214: 7E0E0280
	s_mov_b64 exec, s[36:37]                                   // 000000018218: BEFE0124
	v_mov_b32_e32 v6, v70                                      // 00000001821C: 7E0C0346
	s_mov_b64 s[60:61], 0                                      // 000000018220: BEBC0180
	v_readlane_b32 s82, v3, 0                                  // 000000018224: D2890052 00010103
	s_and_b32 s82, s82, 0xffffff                               // 00000001822C: 8652FF52 00FFFFFF
	s_cmp_lt_u32 s82, s66                                      // 000000018234: BF0A4252
	s_cselect_b32 s20, s36, s60                                // 000000018238: 85143C24
	v_readlane_b32 s82, v3, 1                                  // 00000001823C: D2890052 00010303
	s_and_b32 s82, s82, 0xffffff                               // 000000018244: 8652FF52 00FFFFFF
	s_cmp_lt_u32 s82, s66                                      // 00000001824C: BF0A4252
	s_cselect_b32 s21, s36, s60                                // 000000018250: 85153C24
	s_mov_b64 exec, s[20:21]                                   // 000000018254: BEFE0114
	global_atomic_add_f32 v6, v94, s[8:9] offset:8             // 000000018258: DD348008 00085E06
	global_atomic_add_f32 v6, v98, s[8:9] offset:264           // 000000018260: DD348108 00086206
	s_mov_b64 exec, s[36:37]                                   // 000000018268: BEFE0124
	v_mov_b32_e32 v6, v71                                      // 00000001826C: 7E0C0347
	s_mov_b64 s[60:61], 0                                      // 000000018270: BEBC0180
	v_readlane_b32 s82, v3, 2                                  // 000000018274: D2890052 00010503
	s_and_b32 s82, s82, 0xffffff                               // 00000001827C: 8652FF52 00FFFFFF
	s_cmp_lt_u32 s82, s66                                      // 000000018284: BF0A4252
	s_cselect_b32 s20, s36, s60                                // 000000018288: 85143C24
	v_readlane_b32 s82, v3, 3                                  // 00000001828C: D2890052 00010703
	s_and_b32 s82, s82, 0xffffff                               // 000000018294: 8652FF52 00FFFFFF
	s_cmp_lt_u32 s82, s66                                      // 00000001829C: BF0A4252
	s_cselect_b32 s21, s36, s60                                // 0000000182A0: 85153C24
	s_mov_b64 exec, s[20:21]                                   // 0000000182A4: BEFE0114
	global_atomic_add_f32 v6, v95, s[8:9] offset:8             // 0000000182A8: DD348008 00085F06
	global_atomic_add_f32 v6, v99, s[8:9] offset:264           // 0000000182B0: DD348108 00086306
	s_mov_b64 exec, s[36:37]                                   // 0000000182B8: BEFE0124
	v_mov_b32_e32 v6, v72                                      // 0000000182BC: 7E0C0348
	s_mov_b64 s[60:61], 0                                      // 0000000182C0: BEBC0180
	v_readlane_b32 s82, v3, 4                                  // 0000000182C4: D2890052 00010903
	s_and_b32 s82, s82, 0xffffff                               // 0000000182CC: 8652FF52 00FFFFFF
	s_cmp_lt_u32 s82, s66                                      // 0000000182D4: BF0A4252
	s_cselect_b32 s20, s36, s60                                // 0000000182D8: 85143C24
	v_readlane_b32 s82, v3, 5                                  // 0000000182DC: D2890052 00010B03
	s_and_b32 s82, s82, 0xffffff                               // 0000000182E4: 8652FF52 00FFFFFF
	s_cmp_lt_u32 s82, s66                                      // 0000000182EC: BF0A4252
	s_cselect_b32 s21, s36, s60                                // 0000000182F0: 85153C24
	s_mov_b64 exec, s[20:21]                                   // 0000000182F4: BEFE0114
	global_atomic_add_f32 v6, v102, s[8:9] offset:8            // 0000000182F8: DD348008 00086606
	global_atomic_add_f32 v6, v106, s[8:9] offset:264          // 000000018300: DD348108 00086A06
	s_mov_b64 exec, s[36:37]                                   // 000000018308: BEFE0124
	v_mov_b32_e32 v6, v73                                      // 00000001830C: 7E0C0349
	s_mov_b64 s[60:61], 0                                      // 000000018310: BEBC0180
	v_readlane_b32 s82, v3, 6                                  // 000000018314: D2890052 00010D03
	s_and_b32 s82, s82, 0xffffff                               // 00000001831C: 8652FF52 00FFFFFF
	s_cmp_lt_u32 s82, s66                                      // 000000018324: BF0A4252
	s_cselect_b32 s20, s36, s60                                // 000000018328: 85143C24
	v_readlane_b32 s82, v3, 7                                  // 00000001832C: D2890052 00010F03
	s_and_b32 s82, s82, 0xffffff                               // 000000018334: 8652FF52 00FFFFFF
	s_cmp_lt_u32 s82, s66                                      // 00000001833C: BF0A4252
	s_cselect_b32 s21, s36, s60                                // 000000018340: 85153C24
	s_mov_b64 exec, s[20:21]                                   // 000000018344: BEFE0114
	global_atomic_add_f32 v6, v103, s[8:9] offset:8            // 000000018348: DD348008 00086706
	global_atomic_add_f32 v6, v107, s[8:9] offset:264          // 000000018350: DD348108 00086B06
	s_mov_b64 exec, s[36:37]                                   // 000000018358: BEFE0124
	v_mov_b32_e32 v6, v74                                      // 00000001835C: 7E0C034A
	s_mov_b64 s[60:61], 0                                      // 000000018360: BEBC0180
	v_readlane_b32 s82, v3, 8                                  // 000000018364: D2890052 00011103
	s_and_b32 s82, s82, 0xffffff                               // 00000001836C: 8652FF52 00FFFFFF
	s_cmp_lt_u32 s82, s66                                      // 000000018374: BF0A4252
	s_cselect_b32 s20, s36, s60                                // 000000018378: 85143C24
	v_readlane_b32 s82, v3, 9                                  // 00000001837C: D2890052 00011303
	s_and_b32 s82, s82, 0xffffff                               // 000000018384: 8652FF52 00FFFFFF
	s_cmp_lt_u32 s82, s66                                      // 00000001838C: BF0A4252
	s_cselect_b32 s21, s36, s60                                // 000000018390: 85153C24
	s_mov_b64 exec, s[20:21]                                   // 000000018394: BEFE0114
	global_atomic_add_f32 v6, v110, s[8:9] offset:8            // 000000018398: DD348008 00086E06
	global_atomic_add_f32 v6, v114, s[8:9] offset:264          // 0000000183A0: DD348108 00087206
	s_mov_b64 exec, s[36:37]                                   // 0000000183A8: BEFE0124
	v_mov_b32_e32 v6, v75                                      // 0000000183AC: 7E0C034B
	s_mov_b64 s[60:61], 0                                      // 0000000183B0: BEBC0180
	v_readlane_b32 s82, v3, 10                                 // 0000000183B4: D2890052 00011503
	s_and_b32 s82, s82, 0xffffff                               // 0000000183BC: 8652FF52 00FFFFFF
	s_cmp_lt_u32 s82, s66                                      // 0000000183C4: BF0A4252
	s_cselect_b32 s20, s36, s60                                // 0000000183C8: 85143C24
	v_readlane_b32 s82, v3, 11                                 // 0000000183CC: D2890052 00011703
	s_and_b32 s82, s82, 0xffffff                               // 0000000183D4: 8652FF52 00FFFFFF
	s_cmp_lt_u32 s82, s66                                      // 0000000183DC: BF0A4252
	s_cselect_b32 s21, s36, s60                                // 0000000183E0: 85153C24
	s_mov_b64 exec, s[20:21]                                   // 0000000183E4: BEFE0114
	global_atomic_add_f32 v6, v111, s[8:9] offset:8            // 0000000183E8: DD348008 00086F06
	global_atomic_add_f32 v6, v115, s[8:9] offset:264          // 0000000183F0: DD348108 00087306
	s_mov_b64 exec, s[36:37]                                   // 0000000183F8: BEFE0124
	v_mov_b32_e32 v6, v76                                      // 0000000183FC: 7E0C034C
	s_mov_b64 s[60:61], 0                                      // 000000018400: BEBC0180
	v_readlane_b32 s82, v3, 12                                 // 000000018404: D2890052 00011903
	s_and_b32 s82, s82, 0xffffff                               // 00000001840C: 8652FF52 00FFFFFF
	s_cmp_lt_u32 s82, s66                                      // 000000018414: BF0A4252
	s_cselect_b32 s20, s36, s60                                // 000000018418: 85143C24
	v_readlane_b32 s82, v3, 13                                 // 00000001841C: D2890052 00011B03
	s_and_b32 s82, s82, 0xffffff                               // 000000018424: 8652FF52 00FFFFFF
	s_cmp_lt_u32 s82, s66                                      // 00000001842C: BF0A4252
	s_cselect_b32 s21, s36, s60                                // 000000018430: 85153C24
	s_mov_b64 exec, s[20:21]                                   // 000000018434: BEFE0114
	global_atomic_add_f32 v6, v118, s[8:9] offset:8            // 000000018438: DD348008 00087606
	global_atomic_add_f32 v6, v122, s[8:9] offset:264          // 000000018440: DD348108 00087A06
	s_mov_b64 exec, s[36:37]                                   // 000000018448: BEFE0124
	v_mov_b32_e32 v6, v77                                      // 00000001844C: 7E0C034D
	s_mov_b64 s[60:61], 0                                      // 000000018450: BEBC0180
	v_readlane_b32 s82, v3, 14                                 // 000000018454: D2890052 00011D03
	s_and_b32 s82, s82, 0xffffff                               // 00000001845C: 8652FF52 00FFFFFF
	s_cmp_lt_u32 s82, s66                                      // 000000018464: BF0A4252
	s_cselect_b32 s20, s36, s60                                // 000000018468: 85143C24
	v_readlane_b32 s82, v3, 15                                 // 00000001846C: D2890052 00011F03
	s_and_b32 s82, s82, 0xffffff                               // 000000018474: 8652FF52 00FFFFFF
	s_cmp_lt_u32 s82, s66                                      // 00000001847C: BF0A4252
	s_cselect_b32 s21, s36, s60                                // 000000018480: 85153C24
	s_mov_b64 exec, s[20:21]                                   // 000000018484: BEFE0114
	global_atomic_add_f32 v6, v119, s[8:9] offset:8            // 000000018488: DD348008 00087706
	global_atomic_add_f32 v6, v123, s[8:9] offset:264          // 000000018490: DD348108 00087B06
	s_mov_b64 exec, s[36:37]                                   // 000000018498: BEFE0124
	v_mov_b32_e32 v6, v78                                      // 00000001849C: 7E0C034E
	s_mov_b64 s[60:61], 0                                      // 0000000184A0: BEBC0180
	v_readlane_b32 s82, v3, 16                                 // 0000000184A4: D2890052 00012103
	s_and_b32 s82, s82, 0xffffff                               // 0000000184AC: 8652FF52 00FFFFFF
	s_cmp_lt_u32 s82, s66                                      // 0000000184B4: BF0A4252
	s_cselect_b32 s20, s36, s60                                // 0000000184B8: 85143C24
	v_readlane_b32 s82, v3, 17                                 // 0000000184BC: D2890052 00012303
	s_and_b32 s82, s82, 0xffffff                               // 0000000184C4: 8652FF52 00FFFFFF
	s_cmp_lt_u32 s82, s66                                      // 0000000184CC: BF0A4252
	s_cselect_b32 s21, s36, s60                                // 0000000184D0: 85153C24
	s_mov_b64 exec, s[20:21]                                   // 0000000184D4: BEFE0114
	global_atomic_add_f32 v6, v126, s[8:9] offset:8            // 0000000184D8: DD348008 00087E06
	global_atomic_add_f32 v6, v130, s[8:9] offset:264          // 0000000184E0: DD348108 00088206
	s_mov_b64 exec, s[36:37]                                   // 0000000184E8: BEFE0124
	v_mov_b32_e32 v6, v79                                      // 0000000184EC: 7E0C034F
	s_mov_b64 s[60:61], 0                                      // 0000000184F0: BEBC0180
	v_readlane_b32 s82, v3, 18                                 // 0000000184F4: D2890052 00012503
	s_and_b32 s82, s82, 0xffffff                               // 0000000184FC: 8652FF52 00FFFFFF
	s_cmp_lt_u32 s82, s66                                      // 000000018504: BF0A4252
	s_cselect_b32 s20, s36, s60                                // 000000018508: 85143C24
	v_readlane_b32 s82, v3, 19                                 // 00000001850C: D2890052 00012703
	s_and_b32 s82, s82, 0xffffff                               // 000000018514: 8652FF52 00FFFFFF
	s_cmp_lt_u32 s82, s66                                      // 00000001851C: BF0A4252
	s_cselect_b32 s21, s36, s60                                // 000000018520: 85153C24
	s_mov_b64 exec, s[20:21]                                   // 000000018524: BEFE0114
	global_atomic_add_f32 v6, v127, s[8:9] offset:8            // 000000018528: DD348008 00087F06
	global_atomic_add_f32 v6, v131, s[8:9] offset:264          // 000000018530: DD348108 00088306
	s_mov_b64 exec, s[36:37]                                   // 000000018538: BEFE0124
	v_mov_b32_e32 v6, v80                                      // 00000001853C: 7E0C0350
	s_mov_b64 s[60:61], 0                                      // 000000018540: BEBC0180
	v_readlane_b32 s82, v3, 20                                 // 000000018544: D2890052 00012903
	s_and_b32 s82, s82, 0xffffff                               // 00000001854C: 8652FF52 00FFFFFF
	s_cmp_lt_u32 s82, s66                                      // 000000018554: BF0A4252
	s_cselect_b32 s20, s36, s60                                // 000000018558: 85143C24
	v_readlane_b32 s82, v3, 21                                 // 00000001855C: D2890052 00012B03
	s_and_b32 s82, s82, 0xffffff                               // 000000018564: 8652FF52 00FFFFFF
	s_cmp_lt_u32 s82, s66                                      // 00000001856C: BF0A4252
	s_cselect_b32 s21, s36, s60                                // 000000018570: 85153C24
	s_mov_b64 exec, s[20:21]                                   // 000000018574: BEFE0114
	global_atomic_add_f32 v6, v134, s[8:9] offset:8            // 000000018578: DD348008 00088606
	global_atomic_add_f32 v6, v138, s[8:9] offset:264          // 000000018580: DD348108 00088A06
	s_mov_b64 exec, s[36:37]                                   // 000000018588: BEFE0124
	v_mov_b32_e32 v6, v81                                      // 00000001858C: 7E0C0351
	s_mov_b64 s[60:61], 0                                      // 000000018590: BEBC0180
	v_readlane_b32 s82, v3, 22                                 // 000000018594: D2890052 00012D03
	s_and_b32 s82, s82, 0xffffff                               // 00000001859C: 8652FF52 00FFFFFF
	s_cmp_lt_u32 s82, s66                                      // 0000000185A4: BF0A4252
	s_cselect_b32 s20, s36, s60                                // 0000000185A8: 85143C24
	v_readlane_b32 s82, v3, 23                                 // 0000000185AC: D2890052 00012F03
	s_and_b32 s82, s82, 0xffffff                               // 0000000185B4: 8652FF52 00FFFFFF
	s_cmp_lt_u32 s82, s66                                      // 0000000185BC: BF0A4252
	s_cselect_b32 s21, s36, s60                                // 0000000185C0: 85153C24
	s_mov_b64 exec, s[20:21]                                   // 0000000185C4: BEFE0114
	global_atomic_add_f32 v6, v135, s[8:9] offset:8            // 0000000185C8: DD348008 00088706
	global_atomic_add_f32 v6, v139, s[8:9] offset:264          // 0000000185D0: DD348108 00088B06
	s_mov_b64 exec, s[36:37]                                   // 0000000185D8: BEFE0124
	v_mov_b32_e32 v6, v82                                      // 0000000185DC: 7E0C0352
	s_mov_b64 s[60:61], 0                                      // 0000000185E0: BEBC0180
	v_readlane_b32 s82, v3, 24                                 // 0000000185E4: D2890052 00013103
	s_and_b32 s82, s82, 0xffffff                               // 0000000185EC: 8652FF52 00FFFFFF
	s_cmp_lt_u32 s82, s66                                      // 0000000185F4: BF0A4252
	s_cselect_b32 s20, s36, s60                                // 0000000185F8: 85143C24
	v_readlane_b32 s82, v3, 25                                 // 0000000185FC: D2890052 00013303
	s_and_b32 s82, s82, 0xffffff                               // 000000018604: 8652FF52 00FFFFFF
	s_cmp_lt_u32 s82, s66                                      // 00000001860C: BF0A4252
	s_cselect_b32 s21, s36, s60                                // 000000018610: 85153C24
	s_mov_b64 exec, s[20:21]                                   // 000000018614: BEFE0114
	global_atomic_add_f32 v6, v142, s[8:9] offset:8            // 000000018618: DD348008 00088E06
	global_atomic_add_f32 v6, v146, s[8:9] offset:264          // 000000018620: DD348108 00089206
	s_mov_b64 exec, s[36:37]                                   // 000000018628: BEFE0124
	v_mov_b32_e32 v6, v83                                      // 00000001862C: 7E0C0353
	s_mov_b64 s[60:61], 0                                      // 000000018630: BEBC0180
	v_readlane_b32 s82, v3, 26                                 // 000000018634: D2890052 00013503
	s_and_b32 s82, s82, 0xffffff                               // 00000001863C: 8652FF52 00FFFFFF
	s_cmp_lt_u32 s82, s66                                      // 000000018644: BF0A4252
	s_cselect_b32 s20, s36, s60                                // 000000018648: 85143C24
	v_readlane_b32 s82, v3, 27                                 // 00000001864C: D2890052 00013703
	s_and_b32 s82, s82, 0xffffff                               // 000000018654: 8652FF52 00FFFFFF
	s_cmp_lt_u32 s82, s66                                      // 00000001865C: BF0A4252
	s_cselect_b32 s21, s36, s60                                // 000000018660: 85153C24
	s_mov_b64 exec, s[20:21]                                   // 000000018664: BEFE0114
	global_atomic_add_f32 v6, v143, s[8:9] offset:8            // 000000018668: DD348008 00088F06
	global_atomic_add_f32 v6, v147, s[8:9] offset:264          // 000000018670: DD348108 00089306
	s_mov_b64 exec, s[36:37]                                   // 000000018678: BEFE0124
	v_mov_b32_e32 v6, v84                                      // 00000001867C: 7E0C0354
	s_mov_b64 s[60:61], 0                                      // 000000018680: BEBC0180
	v_readlane_b32 s82, v3, 28                                 // 000000018684: D2890052 00013903
	s_and_b32 s82, s82, 0xffffff                               // 00000001868C: 8652FF52 00FFFFFF
	s_cmp_lt_u32 s82, s66                                      // 000000018694: BF0A4252
	s_cselect_b32 s20, s36, s60                                // 000000018698: 85143C24
	v_readlane_b32 s82, v3, 29                                 // 00000001869C: D2890052 00013B03
	s_and_b32 s82, s82, 0xffffff                               // 0000000186A4: 8652FF52 00FFFFFF
	s_cmp_lt_u32 s82, s66                                      // 0000000186AC: BF0A4252
	s_cselect_b32 s21, s36, s60                                // 0000000186B0: 85153C24
	s_mov_b64 exec, s[20:21]                                   // 0000000186B4: BEFE0114
	global_atomic_add_f32 v6, v150, s[8:9] offset:8            // 0000000186B8: DD348008 00089606
	global_atomic_add_f32 v6, v154, s[8:9] offset:264          // 0000000186C0: DD348108 00089A06
	s_mov_b64 exec, s[36:37]                                   // 0000000186C8: BEFE0124
	v_mov_b32_e32 v6, v85                                      // 0000000186CC: 7E0C0355
	s_mov_b64 s[60:61], 0                                      // 0000000186D0: BEBC0180
	v_readlane_b32 s82, v3, 30                                 // 0000000186D4: D2890052 00013D03
	s_and_b32 s82, s82, 0xffffff                               // 0000000186DC: 8652FF52 00FFFFFF
	s_cmp_lt_u32 s82, s66                                      // 0000000186E4: BF0A4252
	s_cselect_b32 s20, s36, s60                                // 0000000186E8: 85143C24
	v_readlane_b32 s82, v3, 31                                 // 0000000186EC: D2890052 00013F03
	s_and_b32 s82, s82, 0xffffff                               // 0000000186F4: 8652FF52 00FFFFFF
	s_cmp_lt_u32 s82, s66                                      // 0000000186FC: BF0A4252
	s_cselect_b32 s21, s36, s60                                // 000000018700: 85153C24
	s_mov_b64 exec, s[20:21]                                   // 000000018704: BEFE0114
	global_atomic_add_f32 v6, v151, s[8:9] offset:8            // 000000018708: DD348008 00089706
	global_atomic_add_f32 v6, v155, s[8:9] offset:264          // 000000018710: DD348108 00089B06
	s_mov_b64 exec, s[36:37]                                   // 000000018718: BEFE0124
	v_mov_b32_e32 v6, v86                                      // 00000001871C: 7E0C0356
	s_mov_b64 s[60:61], 0                                      // 000000018720: BEBC0180
	v_readlane_b32 s82, v3, 32                                 // 000000018724: D2890052 00014103
	s_and_b32 s82, s82, 0xffffff                               // 00000001872C: 8652FF52 00FFFFFF
	s_cmp_lt_u32 s82, s66                                      // 000000018734: BF0A4252
	s_cselect_b32 s20, s36, s60                                // 000000018738: 85143C24
	v_readlane_b32 s82, v3, 33                                 // 00000001873C: D2890052 00014303
	s_and_b32 s82, s82, 0xffffff                               // 000000018744: 8652FF52 00FFFFFF
	s_cmp_lt_u32 s82, s66                                      // 00000001874C: BF0A4252
	s_cselect_b32 s21, s36, s60                                // 000000018750: 85153C24
	s_mov_b64 exec, s[20:21]                                   // 000000018754: BEFE0114
	global_atomic_add_f32 v6, v158, s[8:9] offset:8            // 000000018758: DD348008 00089E06
	global_atomic_add_f32 v6, v162, s[8:9] offset:264          // 000000018760: DD348108 0008A206
	s_mov_b64 exec, s[36:37]                                   // 000000018768: BEFE0124
	v_mov_b32_e32 v6, v87                                      // 00000001876C: 7E0C0357
	s_mov_b64 s[60:61], 0                                      // 000000018770: BEBC0180
	v_readlane_b32 s82, v3, 34                                 // 000000018774: D2890052 00014503
	s_and_b32 s82, s82, 0xffffff                               // 00000001877C: 8652FF52 00FFFFFF
	s_cmp_lt_u32 s82, s66                                      // 000000018784: BF0A4252
	s_cselect_b32 s20, s36, s60                                // 000000018788: 85143C24
	v_readlane_b32 s82, v3, 35                                 // 00000001878C: D2890052 00014703
	s_and_b32 s82, s82, 0xffffff                               // 000000018794: 8652FF52 00FFFFFF
	s_cmp_lt_u32 s82, s66                                      // 00000001879C: BF0A4252
	s_cselect_b32 s21, s36, s60                                // 0000000187A0: 85153C24
	s_mov_b64 exec, s[20:21]                                   // 0000000187A4: BEFE0114
	global_atomic_add_f32 v6, v159, s[8:9] offset:8            // 0000000187A8: DD348008 00089F06
	global_atomic_add_f32 v6, v163, s[8:9] offset:264          // 0000000187B0: DD348108 0008A306
	s_mov_b64 exec, s[36:37]                                   // 0000000187B8: BEFE0124
	v_mov_b32_e32 v6, v88                                      // 0000000187BC: 7E0C0358
	s_mov_b64 s[60:61], 0                                      // 0000000187C0: BEBC0180
	v_readlane_b32 s82, v3, 36                                 // 0000000187C4: D2890052 00014903
	s_and_b32 s82, s82, 0xffffff                               // 0000000187CC: 8652FF52 00FFFFFF
	s_cmp_lt_u32 s82, s66                                      // 0000000187D4: BF0A4252
	s_cselect_b32 s20, s36, s60                                // 0000000187D8: 85143C24
	v_readlane_b32 s82, v3, 37                                 // 0000000187DC: D2890052 00014B03
	s_and_b32 s82, s82, 0xffffff                               // 0000000187E4: 8652FF52 00FFFFFF
	s_cmp_lt_u32 s82, s66                                      // 0000000187EC: BF0A4252
	s_cselect_b32 s21, s36, s60                                // 0000000187F0: 85153C24
	s_mov_b64 exec, s[20:21]                                   // 0000000187F4: BEFE0114
	global_atomic_add_f32 v6, v166, s[8:9] offset:8            // 0000000187F8: DD348008 0008A606
	global_atomic_add_f32 v6, v170, s[8:9] offset:264          // 000000018800: DD348108 0008AA06
	s_mov_b64 exec, s[36:37]                                   // 000000018808: BEFE0124
	v_mov_b32_e32 v6, v89                                      // 00000001880C: 7E0C0359
	s_mov_b64 s[60:61], 0                                      // 000000018810: BEBC0180
	v_readlane_b32 s82, v3, 38                                 // 000000018814: D2890052 00014D03
	s_and_b32 s82, s82, 0xffffff                               // 00000001881C: 8652FF52 00FFFFFF
	s_cmp_lt_u32 s82, s66                                      // 000000018824: BF0A4252
	s_cselect_b32 s20, s36, s60                                // 000000018828: 85143C24
	v_readlane_b32 s82, v3, 39                                 // 00000001882C: D2890052 00014F03
	s_and_b32 s82, s82, 0xffffff                               // 000000018834: 8652FF52 00FFFFFF
	s_cmp_lt_u32 s82, s66                                      // 00000001883C: BF0A4252
	s_cselect_b32 s21, s36, s60                                // 000000018840: 85153C24
	s_mov_b64 exec, s[20:21]                                   // 000000018844: BEFE0114
	global_atomic_add_f32 v6, v167, s[8:9] offset:8            // 000000018848: DD348008 0008A706
	global_atomic_add_f32 v6, v171, s[8:9] offset:264          // 000000018850: DD348108 0008AB06
	s_mov_b64 exec, s[36:37]                                   // 000000018858: BEFE0124
	ds_write_b64 v20, v[172:173]                               // 00000001885C: D89A0000 0000AC14
	ds_write_b64 v20, v[176:177] offset:4352                   // 000000018864: D89A1100 0000B014
	ds_write_b64 v20, v[180:181] offset:8704                   // 00000001886C: D89A2200 0000B414
	ds_write_b64 v20, v[184:185] offset:13056                  // 000000018874: D89A3300 0000B814
	ds_write_b64 v20, v[188:189] offset:17408                  // 00000001887C: D89A4400 0000BC14
	ds_write_b64 v20, v[192:193] offset:21760                  // 000000018884: D89A5500 0000C014
	ds_write_b64 v20, v[196:197] offset:26112                  // 00000001888C: D89A6600 0000C414
	ds_write_b64 v20, v[200:201] offset:30464                  // 000000018894: D89A7700 0000C814
	ds_write_b64 v20, v[204:205] offset:34816                  // 00000001889C: D89A8800 0000CC14
	ds_write_b64 v20, v[208:209] offset:39168                  // 0000000188A4: D89A9900 0000D014
	ds_write_b64 v20, v[212:213] offset:2176                   // 0000000188AC: D89A0880 0000D414
	ds_write_b64 v20, v[216:217] offset:6528                   // 0000000188B4: D89A1980 0000D814
	ds_write_b64 v20, v[220:221] offset:10880                  // 0000000188BC: D89A2A80 0000DC14
	ds_write_b64 v20, v[224:225] offset:15232                  // 0000000188C4: D89A3B80 0000E014
	ds_write_b64 v20, v[228:229] offset:19584                  // 0000000188CC: D89A4C80 0000E414
	ds_write_b64 v20, v[232:233] offset:23936                  // 0000000188D4: D89A5D80 0000E814
	ds_write_b64 v20, v[236:237] offset:28288                  // 0000000188DC: D89A6E80 0000EC14
	ds_write_b64 v20, v[240:241] offset:32640                  // 0000000188E4: D89A7F80 0000F014
	ds_write_b64 v20, v[244:245] offset:36992                  // 0000000188EC: D89A9080 0000F414
	ds_write_b64 v20, v[248:249] offset:41344                  // 0000000188F4: D89AA180 0000F814
	s_waitcnt lgkmcnt(0)                                       // 0000000188FC: BF8CC07F
	s_barrier                                                  // 000000018900: BF8A0000
	ds_read_b32 v172, v21                                      // 000000018904: D86C0000 AC000015
	ds_read_b32 v173, v21 offset:64                            // 00000001890C: D86C0040 AD000015
	ds_read_b32 v176, v21 offset:2176                          // 000000018914: D86C0880 B0000015
	ds_read_b32 v177, v21 offset:2240                          // 00000001891C: D86C08C0 B1000015
	ds_read_b32 v180, v21 offset:4352                          // 000000018924: D86C1100 B4000015
	ds_read_b32 v181, v21 offset:4416                          // 00000001892C: D86C1140 B5000015
	ds_read_b32 v184, v21 offset:6528                          // 000000018934: D86C1980 B8000015
	ds_read_b32 v185, v21 offset:6592                          // 00000001893C: D86C19C0 B9000015
	ds_read_b32 v188, v21 offset:8704                          // 000000018944: D86C2200 BC000015
	ds_read_b32 v189, v21 offset:8768                          // 00000001894C: D86C2240 BD000015
	ds_read_b32 v192, v21 offset:10880                         // 000000018954: D86C2A80 C0000015
	ds_read_b32 v193, v21 offset:10944                         // 00000001895C: D86C2AC0 C1000015
	ds_read_b32 v196, v21 offset:13056                         // 000000018964: D86C3300 C4000015
	ds_read_b32 v197, v21 offset:13120                         // 00000001896C: D86C3340 C5000015
	ds_read_b32 v200, v21 offset:15232                         // 000000018974: D86C3B80 C8000015
	ds_read_b32 v201, v21 offset:15296                         // 00000001897C: D86C3BC0 C9000015
	ds_read_b32 v204, v21 offset:17408                         // 000000018984: D86C4400 CC000015
	ds_read_b32 v205, v21 offset:17472                         // 00000001898C: D86C4440 CD000015
	ds_read_b32 v208, v21 offset:19584                         // 000000018994: D86C4C80 D0000015
	ds_read_b32 v209, v21 offset:19648                         // 00000001899C: D86C4CC0 D1000015
	ds_read_b32 v212, v21 offset:21760                         // 0000000189A4: D86C5500 D4000015
	ds_read_b32 v213, v21 offset:21824                         // 0000000189AC: D86C5540 D5000015
	ds_read_b32 v216, v21 offset:23936                         // 0000000189B4: D86C5D80 D8000015
	ds_read_b32 v217, v21 offset:24000                         // 0000000189BC: D86C5DC0 D9000015
	ds_read_b32 v220, v21 offset:26112                         // 0000000189C4: D86C6600 DC000015
	ds_read_b32 v221, v21 offset:26176                         // 0000000189CC: D86C6640 DD000015
	ds_read_b32 v224, v21 offset:28288                         // 0000000189D4: D86C6E80 E0000015
	ds_read_b32 v225, v21 offset:28352                         // 0000000189DC: D86C6EC0 E1000015
	ds_read_b32 v228, v21 offset:30464                         // 0000000189E4: D86C7700 E4000015
	ds_read_b32 v229, v21 offset:30528                         // 0000000189EC: D86C7740 E5000015
	ds_read_b32 v232, v21 offset:32640                         // 0000000189F4: D86C7F80 E8000015
	ds_read_b32 v233, v21 offset:32704                         // 0000000189FC: D86C7FC0 E9000015
	ds_read_b32 v236, v21 offset:34816                         // 000000018A04: D86C8800 EC000015
	ds_read_b32 v237, v21 offset:34880                         // 000000018A0C: D86C8840 ED000015
	ds_read_b32 v240, v21 offset:36992                         // 000000018A14: D86C9080 F0000015
	ds_read_b32 v241, v21 offset:37056                         // 000000018A1C: D86C90C0 F1000015
	ds_read_b32 v244, v21 offset:39168                         // 000000018A24: D86C9900 F4000015
	ds_read_b32 v245, v21 offset:39232                         // 000000018A2C: D86C9940 F5000015
	ds_read_b32 v248, v21 offset:41344                         // 000000018A34: D86CA180 F8000015
	ds_read_b32 v249, v21 offset:41408                         // 000000018A3C: D86CA1C0 F9000015
	s_mul_i32 s60, s65, 4                                      // 000000018A44: 923C8441
	s_add_u32 s8, s60, s8                                      // 000000018A48: 8008083C
	s_addc_u32 s9, 0, s9                                       // 000000018A4C: 82090980
	s_waitcnt lgkmcnt(0)                                       // 000000018A50: BF8CC07F
	v_mov_b32_e32 v7, 0                                        // 000000018A54: 7E0E0280
	s_mov_b64 exec, s[36:37]                                   // 000000018A58: BEFE0124
	v_mov_b32_e32 v6, v70                                      // 000000018A5C: 7E0C0346
	s_mov_b64 s[60:61], 0                                      // 000000018A60: BEBC0180
	v_readlane_b32 s82, v3, 0                                  // 000000018A64: D2890052 00010103
	s_and_b32 s82, s82, 0xffffff                               // 000000018A6C: 8652FF52 00FFFFFF
	s_cmp_lt_u32 s82, s66                                      // 000000018A74: BF0A4252
	s_cselect_b32 s20, s36, s60                                // 000000018A78: 85143C24
	v_readlane_b32 s82, v3, 1                                  // 000000018A7C: D2890052 00010303
	s_and_b32 s82, s82, 0xffffff                               // 000000018A84: 8652FF52 00FFFFFF
	s_cmp_lt_u32 s82, s66                                      // 000000018A8C: BF0A4252
	s_cselect_b32 s21, s36, s60                                // 000000018A90: 85153C24
	s_mov_b64 exec, s[20:21]                                   // 000000018A94: BEFE0114
	global_atomic_add_f32 v6, v172, s[8:9]                     // 000000018A98: DD348000 0008AC06
	global_atomic_add_f32 v6, v176, s[8:9] offset:256          // 000000018AA0: DD348100 0008B006
	s_mov_b64 exec, s[36:37]                                   // 000000018AA8: BEFE0124
	v_mov_b32_e32 v6, v71                                      // 000000018AAC: 7E0C0347
	s_mov_b64 s[60:61], 0                                      // 000000018AB0: BEBC0180
	v_readlane_b32 s82, v3, 2                                  // 000000018AB4: D2890052 00010503
	s_and_b32 s82, s82, 0xffffff                               // 000000018ABC: 8652FF52 00FFFFFF
	s_cmp_lt_u32 s82, s66                                      // 000000018AC4: BF0A4252
	s_cselect_b32 s20, s36, s60                                // 000000018AC8: 85143C24
	v_readlane_b32 s82, v3, 3                                  // 000000018ACC: D2890052 00010703
	s_and_b32 s82, s82, 0xffffff                               // 000000018AD4: 8652FF52 00FFFFFF
	s_cmp_lt_u32 s82, s66                                      // 000000018ADC: BF0A4252
	s_cselect_b32 s21, s36, s60                                // 000000018AE0: 85153C24
	s_mov_b64 exec, s[20:21]                                   // 000000018AE4: BEFE0114
	global_atomic_add_f32 v6, v173, s[8:9]                     // 000000018AE8: DD348000 0008AD06
	global_atomic_add_f32 v6, v177, s[8:9] offset:256          // 000000018AF0: DD348100 0008B106
	s_mov_b64 exec, s[36:37]                                   // 000000018AF8: BEFE0124
	v_mov_b32_e32 v6, v72                                      // 000000018AFC: 7E0C0348
	s_mov_b64 s[60:61], 0                                      // 000000018B00: BEBC0180
	v_readlane_b32 s82, v3, 4                                  // 000000018B04: D2890052 00010903
	s_and_b32 s82, s82, 0xffffff                               // 000000018B0C: 8652FF52 00FFFFFF
	s_cmp_lt_u32 s82, s66                                      // 000000018B14: BF0A4252
	s_cselect_b32 s20, s36, s60                                // 000000018B18: 85143C24
	v_readlane_b32 s82, v3, 5                                  // 000000018B1C: D2890052 00010B03
	s_and_b32 s82, s82, 0xffffff                               // 000000018B24: 8652FF52 00FFFFFF
	s_cmp_lt_u32 s82, s66                                      // 000000018B2C: BF0A4252
	s_cselect_b32 s21, s36, s60                                // 000000018B30: 85153C24
	s_mov_b64 exec, s[20:21]                                   // 000000018B34: BEFE0114
	global_atomic_add_f32 v6, v180, s[8:9]                     // 000000018B38: DD348000 0008B406
	global_atomic_add_f32 v6, v184, s[8:9] offset:256          // 000000018B40: DD348100 0008B806
	s_mov_b64 exec, s[36:37]                                   // 000000018B48: BEFE0124
	v_mov_b32_e32 v6, v73                                      // 000000018B4C: 7E0C0349
	s_mov_b64 s[60:61], 0                                      // 000000018B50: BEBC0180
	v_readlane_b32 s82, v3, 6                                  // 000000018B54: D2890052 00010D03
	s_and_b32 s82, s82, 0xffffff                               // 000000018B5C: 8652FF52 00FFFFFF
	s_cmp_lt_u32 s82, s66                                      // 000000018B64: BF0A4252
	s_cselect_b32 s20, s36, s60                                // 000000018B68: 85143C24
	v_readlane_b32 s82, v3, 7                                  // 000000018B6C: D2890052 00010F03
	s_and_b32 s82, s82, 0xffffff                               // 000000018B74: 8652FF52 00FFFFFF
	s_cmp_lt_u32 s82, s66                                      // 000000018B7C: BF0A4252
	s_cselect_b32 s21, s36, s60                                // 000000018B80: 85153C24
	s_mov_b64 exec, s[20:21]                                   // 000000018B84: BEFE0114
	global_atomic_add_f32 v6, v181, s[8:9]                     // 000000018B88: DD348000 0008B506
	global_atomic_add_f32 v6, v185, s[8:9] offset:256          // 000000018B90: DD348100 0008B906
	s_mov_b64 exec, s[36:37]                                   // 000000018B98: BEFE0124
	v_mov_b32_e32 v6, v74                                      // 000000018B9C: 7E0C034A
	s_mov_b64 s[60:61], 0                                      // 000000018BA0: BEBC0180
	v_readlane_b32 s82, v3, 8                                  // 000000018BA4: D2890052 00011103
	s_and_b32 s82, s82, 0xffffff                               // 000000018BAC: 8652FF52 00FFFFFF
	s_cmp_lt_u32 s82, s66                                      // 000000018BB4: BF0A4252
	s_cselect_b32 s20, s36, s60                                // 000000018BB8: 85143C24
	v_readlane_b32 s82, v3, 9                                  // 000000018BBC: D2890052 00011303
	s_and_b32 s82, s82, 0xffffff                               // 000000018BC4: 8652FF52 00FFFFFF
	s_cmp_lt_u32 s82, s66                                      // 000000018BCC: BF0A4252
	s_cselect_b32 s21, s36, s60                                // 000000018BD0: 85153C24
	s_mov_b64 exec, s[20:21]                                   // 000000018BD4: BEFE0114
	global_atomic_add_f32 v6, v188, s[8:9]                     // 000000018BD8: DD348000 0008BC06
	global_atomic_add_f32 v6, v192, s[8:9] offset:256          // 000000018BE0: DD348100 0008C006
	s_mov_b64 exec, s[36:37]                                   // 000000018BE8: BEFE0124
	v_mov_b32_e32 v6, v75                                      // 000000018BEC: 7E0C034B
	s_mov_b64 s[60:61], 0                                      // 000000018BF0: BEBC0180
	v_readlane_b32 s82, v3, 10                                 // 000000018BF4: D2890052 00011503
	s_and_b32 s82, s82, 0xffffff                               // 000000018BFC: 8652FF52 00FFFFFF
	s_cmp_lt_u32 s82, s66                                      // 000000018C04: BF0A4252
	s_cselect_b32 s20, s36, s60                                // 000000018C08: 85143C24
	v_readlane_b32 s82, v3, 11                                 // 000000018C0C: D2890052 00011703
	s_and_b32 s82, s82, 0xffffff                               // 000000018C14: 8652FF52 00FFFFFF
	s_cmp_lt_u32 s82, s66                                      // 000000018C1C: BF0A4252
	s_cselect_b32 s21, s36, s60                                // 000000018C20: 85153C24
	s_mov_b64 exec, s[20:21]                                   // 000000018C24: BEFE0114
	global_atomic_add_f32 v6, v189, s[8:9]                     // 000000018C28: DD348000 0008BD06
	global_atomic_add_f32 v6, v193, s[8:9] offset:256          // 000000018C30: DD348100 0008C106
	s_mov_b64 exec, s[36:37]                                   // 000000018C38: BEFE0124
	v_mov_b32_e32 v6, v76                                      // 000000018C3C: 7E0C034C
	s_mov_b64 s[60:61], 0                                      // 000000018C40: BEBC0180
	v_readlane_b32 s82, v3, 12                                 // 000000018C44: D2890052 00011903
	s_and_b32 s82, s82, 0xffffff                               // 000000018C4C: 8652FF52 00FFFFFF
	s_cmp_lt_u32 s82, s66                                      // 000000018C54: BF0A4252
	s_cselect_b32 s20, s36, s60                                // 000000018C58: 85143C24
	v_readlane_b32 s82, v3, 13                                 // 000000018C5C: D2890052 00011B03
	s_and_b32 s82, s82, 0xffffff                               // 000000018C64: 8652FF52 00FFFFFF
	s_cmp_lt_u32 s82, s66                                      // 000000018C6C: BF0A4252
	s_cselect_b32 s21, s36, s60                                // 000000018C70: 85153C24
	s_mov_b64 exec, s[20:21]                                   // 000000018C74: BEFE0114
	global_atomic_add_f32 v6, v196, s[8:9]                     // 000000018C78: DD348000 0008C406
	global_atomic_add_f32 v6, v200, s[8:9] offset:256          // 000000018C80: DD348100 0008C806
	s_mov_b64 exec, s[36:37]                                   // 000000018C88: BEFE0124
	v_mov_b32_e32 v6, v77                                      // 000000018C8C: 7E0C034D
	s_mov_b64 s[60:61], 0                                      // 000000018C90: BEBC0180
	v_readlane_b32 s82, v3, 14                                 // 000000018C94: D2890052 00011D03
	s_and_b32 s82, s82, 0xffffff                               // 000000018C9C: 8652FF52 00FFFFFF
	s_cmp_lt_u32 s82, s66                                      // 000000018CA4: BF0A4252
	s_cselect_b32 s20, s36, s60                                // 000000018CA8: 85143C24
	v_readlane_b32 s82, v3, 15                                 // 000000018CAC: D2890052 00011F03
	s_and_b32 s82, s82, 0xffffff                               // 000000018CB4: 8652FF52 00FFFFFF
	s_cmp_lt_u32 s82, s66                                      // 000000018CBC: BF0A4252
	s_cselect_b32 s21, s36, s60                                // 000000018CC0: 85153C24
	s_mov_b64 exec, s[20:21]                                   // 000000018CC4: BEFE0114
	global_atomic_add_f32 v6, v197, s[8:9]                     // 000000018CC8: DD348000 0008C506
	global_atomic_add_f32 v6, v201, s[8:9] offset:256          // 000000018CD0: DD348100 0008C906
	s_mov_b64 exec, s[36:37]                                   // 000000018CD8: BEFE0124
	v_mov_b32_e32 v6, v78                                      // 000000018CDC: 7E0C034E
	s_mov_b64 s[60:61], 0                                      // 000000018CE0: BEBC0180
	v_readlane_b32 s82, v3, 16                                 // 000000018CE4: D2890052 00012103
	s_and_b32 s82, s82, 0xffffff                               // 000000018CEC: 8652FF52 00FFFFFF
	s_cmp_lt_u32 s82, s66                                      // 000000018CF4: BF0A4252
	s_cselect_b32 s20, s36, s60                                // 000000018CF8: 85143C24
	v_readlane_b32 s82, v3, 17                                 // 000000018CFC: D2890052 00012303
	s_and_b32 s82, s82, 0xffffff                               // 000000018D04: 8652FF52 00FFFFFF
	s_cmp_lt_u32 s82, s66                                      // 000000018D0C: BF0A4252
	s_cselect_b32 s21, s36, s60                                // 000000018D10: 85153C24
	s_mov_b64 exec, s[20:21]                                   // 000000018D14: BEFE0114
	global_atomic_add_f32 v6, v204, s[8:9]                     // 000000018D18: DD348000 0008CC06
	global_atomic_add_f32 v6, v208, s[8:9] offset:256          // 000000018D20: DD348100 0008D006
	s_mov_b64 exec, s[36:37]                                   // 000000018D28: BEFE0124
	v_mov_b32_e32 v6, v79                                      // 000000018D2C: 7E0C034F
	s_mov_b64 s[60:61], 0                                      // 000000018D30: BEBC0180
	v_readlane_b32 s82, v3, 18                                 // 000000018D34: D2890052 00012503
	s_and_b32 s82, s82, 0xffffff                               // 000000018D3C: 8652FF52 00FFFFFF
	s_cmp_lt_u32 s82, s66                                      // 000000018D44: BF0A4252
	s_cselect_b32 s20, s36, s60                                // 000000018D48: 85143C24
	v_readlane_b32 s82, v3, 19                                 // 000000018D4C: D2890052 00012703
	s_and_b32 s82, s82, 0xffffff                               // 000000018D54: 8652FF52 00FFFFFF
	s_cmp_lt_u32 s82, s66                                      // 000000018D5C: BF0A4252
	s_cselect_b32 s21, s36, s60                                // 000000018D60: 85153C24
	s_mov_b64 exec, s[20:21]                                   // 000000018D64: BEFE0114
	global_atomic_add_f32 v6, v205, s[8:9]                     // 000000018D68: DD348000 0008CD06
	global_atomic_add_f32 v6, v209, s[8:9] offset:256          // 000000018D70: DD348100 0008D106
	s_mov_b64 exec, s[36:37]                                   // 000000018D78: BEFE0124
	v_mov_b32_e32 v6, v80                                      // 000000018D7C: 7E0C0350
	s_mov_b64 s[60:61], 0                                      // 000000018D80: BEBC0180
	v_readlane_b32 s82, v3, 20                                 // 000000018D84: D2890052 00012903
	s_and_b32 s82, s82, 0xffffff                               // 000000018D8C: 8652FF52 00FFFFFF
	s_cmp_lt_u32 s82, s66                                      // 000000018D94: BF0A4252
	s_cselect_b32 s20, s36, s60                                // 000000018D98: 85143C24
	v_readlane_b32 s82, v3, 21                                 // 000000018D9C: D2890052 00012B03
	s_and_b32 s82, s82, 0xffffff                               // 000000018DA4: 8652FF52 00FFFFFF
	s_cmp_lt_u32 s82, s66                                      // 000000018DAC: BF0A4252
	s_cselect_b32 s21, s36, s60                                // 000000018DB0: 85153C24
	s_mov_b64 exec, s[20:21]                                   // 000000018DB4: BEFE0114
	global_atomic_add_f32 v6, v212, s[8:9]                     // 000000018DB8: DD348000 0008D406
	global_atomic_add_f32 v6, v216, s[8:9] offset:256          // 000000018DC0: DD348100 0008D806
	s_mov_b64 exec, s[36:37]                                   // 000000018DC8: BEFE0124
	v_mov_b32_e32 v6, v81                                      // 000000018DCC: 7E0C0351
	s_mov_b64 s[60:61], 0                                      // 000000018DD0: BEBC0180
	v_readlane_b32 s82, v3, 22                                 // 000000018DD4: D2890052 00012D03
	s_and_b32 s82, s82, 0xffffff                               // 000000018DDC: 8652FF52 00FFFFFF
	s_cmp_lt_u32 s82, s66                                      // 000000018DE4: BF0A4252
	s_cselect_b32 s20, s36, s60                                // 000000018DE8: 85143C24
	v_readlane_b32 s82, v3, 23                                 // 000000018DEC: D2890052 00012F03
	s_and_b32 s82, s82, 0xffffff                               // 000000018DF4: 8652FF52 00FFFFFF
	s_cmp_lt_u32 s82, s66                                      // 000000018DFC: BF0A4252
	s_cselect_b32 s21, s36, s60                                // 000000018E00: 85153C24
	s_mov_b64 exec, s[20:21]                                   // 000000018E04: BEFE0114
	global_atomic_add_f32 v6, v213, s[8:9]                     // 000000018E08: DD348000 0008D506
	global_atomic_add_f32 v6, v217, s[8:9] offset:256          // 000000018E10: DD348100 0008D906
	s_mov_b64 exec, s[36:37]                                   // 000000018E18: BEFE0124
	v_mov_b32_e32 v6, v82                                      // 000000018E1C: 7E0C0352
	s_mov_b64 s[60:61], 0                                      // 000000018E20: BEBC0180
	v_readlane_b32 s82, v3, 24                                 // 000000018E24: D2890052 00013103
	s_and_b32 s82, s82, 0xffffff                               // 000000018E2C: 8652FF52 00FFFFFF
	s_cmp_lt_u32 s82, s66                                      // 000000018E34: BF0A4252
	s_cselect_b32 s20, s36, s60                                // 000000018E38: 85143C24
	v_readlane_b32 s82, v3, 25                                 // 000000018E3C: D2890052 00013303
	s_and_b32 s82, s82, 0xffffff                               // 000000018E44: 8652FF52 00FFFFFF
	s_cmp_lt_u32 s82, s66                                      // 000000018E4C: BF0A4252
	s_cselect_b32 s21, s36, s60                                // 000000018E50: 85153C24
	s_mov_b64 exec, s[20:21]                                   // 000000018E54: BEFE0114
	global_atomic_add_f32 v6, v220, s[8:9]                     // 000000018E58: DD348000 0008DC06
	global_atomic_add_f32 v6, v224, s[8:9] offset:256          // 000000018E60: DD348100 0008E006
	s_mov_b64 exec, s[36:37]                                   // 000000018E68: BEFE0124
	v_mov_b32_e32 v6, v83                                      // 000000018E6C: 7E0C0353
	s_mov_b64 s[60:61], 0                                      // 000000018E70: BEBC0180
	v_readlane_b32 s82, v3, 26                                 // 000000018E74: D2890052 00013503
	s_and_b32 s82, s82, 0xffffff                               // 000000018E7C: 8652FF52 00FFFFFF
	s_cmp_lt_u32 s82, s66                                      // 000000018E84: BF0A4252
	s_cselect_b32 s20, s36, s60                                // 000000018E88: 85143C24
	v_readlane_b32 s82, v3, 27                                 // 000000018E8C: D2890052 00013703
	s_and_b32 s82, s82, 0xffffff                               // 000000018E94: 8652FF52 00FFFFFF
	s_cmp_lt_u32 s82, s66                                      // 000000018E9C: BF0A4252
	s_cselect_b32 s21, s36, s60                                // 000000018EA0: 85153C24
	s_mov_b64 exec, s[20:21]                                   // 000000018EA4: BEFE0114
	global_atomic_add_f32 v6, v221, s[8:9]                     // 000000018EA8: DD348000 0008DD06
	global_atomic_add_f32 v6, v225, s[8:9] offset:256          // 000000018EB0: DD348100 0008E106
	s_mov_b64 exec, s[36:37]                                   // 000000018EB8: BEFE0124
	v_mov_b32_e32 v6, v84                                      // 000000018EBC: 7E0C0354
	s_mov_b64 s[60:61], 0                                      // 000000018EC0: BEBC0180
	v_readlane_b32 s82, v3, 28                                 // 000000018EC4: D2890052 00013903
	s_and_b32 s82, s82, 0xffffff                               // 000000018ECC: 8652FF52 00FFFFFF
	s_cmp_lt_u32 s82, s66                                      // 000000018ED4: BF0A4252
	s_cselect_b32 s20, s36, s60                                // 000000018ED8: 85143C24
	v_readlane_b32 s82, v3, 29                                 // 000000018EDC: D2890052 00013B03
	s_and_b32 s82, s82, 0xffffff                               // 000000018EE4: 8652FF52 00FFFFFF
	s_cmp_lt_u32 s82, s66                                      // 000000018EEC: BF0A4252
	s_cselect_b32 s21, s36, s60                                // 000000018EF0: 85153C24
	s_mov_b64 exec, s[20:21]                                   // 000000018EF4: BEFE0114
	global_atomic_add_f32 v6, v228, s[8:9]                     // 000000018EF8: DD348000 0008E406
	global_atomic_add_f32 v6, v232, s[8:9] offset:256          // 000000018F00: DD348100 0008E806
	s_mov_b64 exec, s[36:37]                                   // 000000018F08: BEFE0124
	v_mov_b32_e32 v6, v85                                      // 000000018F0C: 7E0C0355
	s_mov_b64 s[60:61], 0                                      // 000000018F10: BEBC0180
	v_readlane_b32 s82, v3, 30                                 // 000000018F14: D2890052 00013D03
	s_and_b32 s82, s82, 0xffffff                               // 000000018F1C: 8652FF52 00FFFFFF
	s_cmp_lt_u32 s82, s66                                      // 000000018F24: BF0A4252
	s_cselect_b32 s20, s36, s60                                // 000000018F28: 85143C24
	v_readlane_b32 s82, v3, 31                                 // 000000018F2C: D2890052 00013F03
	s_and_b32 s82, s82, 0xffffff                               // 000000018F34: 8652FF52 00FFFFFF
	s_cmp_lt_u32 s82, s66                                      // 000000018F3C: BF0A4252
	s_cselect_b32 s21, s36, s60                                // 000000018F40: 85153C24
	s_mov_b64 exec, s[20:21]                                   // 000000018F44: BEFE0114
	global_atomic_add_f32 v6, v229, s[8:9]                     // 000000018F48: DD348000 0008E506
	global_atomic_add_f32 v6, v233, s[8:9] offset:256          // 000000018F50: DD348100 0008E906
	s_mov_b64 exec, s[36:37]                                   // 000000018F58: BEFE0124
	v_mov_b32_e32 v6, v86                                      // 000000018F5C: 7E0C0356
	s_mov_b64 s[60:61], 0                                      // 000000018F60: BEBC0180
	v_readlane_b32 s82, v3, 32                                 // 000000018F64: D2890052 00014103
	s_and_b32 s82, s82, 0xffffff                               // 000000018F6C: 8652FF52 00FFFFFF
	s_cmp_lt_u32 s82, s66                                      // 000000018F74: BF0A4252
	s_cselect_b32 s20, s36, s60                                // 000000018F78: 85143C24
	v_readlane_b32 s82, v3, 33                                 // 000000018F7C: D2890052 00014303
	s_and_b32 s82, s82, 0xffffff                               // 000000018F84: 8652FF52 00FFFFFF
	s_cmp_lt_u32 s82, s66                                      // 000000018F8C: BF0A4252
	s_cselect_b32 s21, s36, s60                                // 000000018F90: 85153C24
	s_mov_b64 exec, s[20:21]                                   // 000000018F94: BEFE0114
	global_atomic_add_f32 v6, v236, s[8:9]                     // 000000018F98: DD348000 0008EC06
	global_atomic_add_f32 v6, v240, s[8:9] offset:256          // 000000018FA0: DD348100 0008F006
	s_mov_b64 exec, s[36:37]                                   // 000000018FA8: BEFE0124
	v_mov_b32_e32 v6, v87                                      // 000000018FAC: 7E0C0357
	s_mov_b64 s[60:61], 0                                      // 000000018FB0: BEBC0180
	v_readlane_b32 s82, v3, 34                                 // 000000018FB4: D2890052 00014503
	s_and_b32 s82, s82, 0xffffff                               // 000000018FBC: 8652FF52 00FFFFFF
	s_cmp_lt_u32 s82, s66                                      // 000000018FC4: BF0A4252
	s_cselect_b32 s20, s36, s60                                // 000000018FC8: 85143C24
	v_readlane_b32 s82, v3, 35                                 // 000000018FCC: D2890052 00014703
	s_and_b32 s82, s82, 0xffffff                               // 000000018FD4: 8652FF52 00FFFFFF
	s_cmp_lt_u32 s82, s66                                      // 000000018FDC: BF0A4252
	s_cselect_b32 s21, s36, s60                                // 000000018FE0: 85153C24
	s_mov_b64 exec, s[20:21]                                   // 000000018FE4: BEFE0114
	global_atomic_add_f32 v6, v237, s[8:9]                     // 000000018FE8: DD348000 0008ED06
	global_atomic_add_f32 v6, v241, s[8:9] offset:256          // 000000018FF0: DD348100 0008F106
	s_mov_b64 exec, s[36:37]                                   // 000000018FF8: BEFE0124
	v_mov_b32_e32 v6, v88                                      // 000000018FFC: 7E0C0358
	s_mov_b64 s[60:61], 0                                      // 000000019000: BEBC0180
	v_readlane_b32 s82, v3, 36                                 // 000000019004: D2890052 00014903
	s_and_b32 s82, s82, 0xffffff                               // 00000001900C: 8652FF52 00FFFFFF
	s_cmp_lt_u32 s82, s66                                      // 000000019014: BF0A4252
	s_cselect_b32 s20, s36, s60                                // 000000019018: 85143C24
	v_readlane_b32 s82, v3, 37                                 // 00000001901C: D2890052 00014B03
	s_and_b32 s82, s82, 0xffffff                               // 000000019024: 8652FF52 00FFFFFF
	s_cmp_lt_u32 s82, s66                                      // 00000001902C: BF0A4252
	s_cselect_b32 s21, s36, s60                                // 000000019030: 85153C24
	s_mov_b64 exec, s[20:21]                                   // 000000019034: BEFE0114
	global_atomic_add_f32 v6, v244, s[8:9]                     // 000000019038: DD348000 0008F406
	global_atomic_add_f32 v6, v248, s[8:9] offset:256          // 000000019040: DD348100 0008F806
	s_mov_b64 exec, s[36:37]                                   // 000000019048: BEFE0124
	v_mov_b32_e32 v6, v89                                      // 00000001904C: 7E0C0359
	s_mov_b64 s[60:61], 0                                      // 000000019050: BEBC0180
	v_readlane_b32 s82, v3, 38                                 // 000000019054: D2890052 00014D03
	s_and_b32 s82, s82, 0xffffff                               // 00000001905C: 8652FF52 00FFFFFF
	s_cmp_lt_u32 s82, s66                                      // 000000019064: BF0A4252
	s_cselect_b32 s20, s36, s60                                // 000000019068: 85143C24
	v_readlane_b32 s82, v3, 39                                 // 00000001906C: D2890052 00014F03
	s_and_b32 s82, s82, 0xffffff                               // 000000019074: 8652FF52 00FFFFFF
	s_cmp_lt_u32 s82, s66                                      // 00000001907C: BF0A4252
	s_cselect_b32 s21, s36, s60                                // 000000019080: 85153C24
	s_mov_b64 exec, s[20:21]                                   // 000000019084: BEFE0114
	global_atomic_add_f32 v6, v245, s[8:9]                     // 000000019088: DD348000 0008F506
	global_atomic_add_f32 v6, v249, s[8:9] offset:256          // 000000019090: DD348100 0008F906
	s_mov_b64 exec, s[36:37]                                   // 000000019098: BEFE0124
	ds_write_b64 v20, v[174:175]                               // 00000001909C: D89A0000 0000AE14
	ds_write_b64 v20, v[178:179] offset:4352                   // 0000000190A4: D89A1100 0000B214
	ds_write_b64 v20, v[182:183] offset:8704                   // 0000000190AC: D89A2200 0000B614
	ds_write_b64 v20, v[186:187] offset:13056                  // 0000000190B4: D89A3300 0000BA14
	ds_write_b64 v20, v[190:191] offset:17408                  // 0000000190BC: D89A4400 0000BE14
	ds_write_b64 v20, v[194:195] offset:21760                  // 0000000190C4: D89A5500 0000C214
	ds_write_b64 v20, v[198:199] offset:26112                  // 0000000190CC: D89A6600 0000C614
	ds_write_b64 v20, v[202:203] offset:30464                  // 0000000190D4: D89A7700 0000CA14
	ds_write_b64 v20, v[206:207] offset:34816                  // 0000000190DC: D89A8800 0000CE14
	ds_write_b64 v20, v[210:211] offset:39168                  // 0000000190E4: D89A9900 0000D214
	ds_write_b64 v20, v[214:215] offset:2176                   // 0000000190EC: D89A0880 0000D614
	ds_write_b64 v20, v[218:219] offset:6528                   // 0000000190F4: D89A1980 0000DA14
	ds_write_b64 v20, v[222:223] offset:10880                  // 0000000190FC: D89A2A80 0000DE14
	ds_write_b64 v20, v[226:227] offset:15232                  // 000000019104: D89A3B80 0000E214
	ds_write_b64 v20, v[230:231] offset:19584                  // 00000001910C: D89A4C80 0000E614
	ds_write_b64 v20, v[234:235] offset:23936                  // 000000019114: D89A5D80 0000EA14
	ds_write_b64 v20, v[238:239] offset:28288                  // 00000001911C: D89A6E80 0000EE14
	ds_write_b64 v20, v[242:243] offset:32640                  // 000000019124: D89A7F80 0000F214
	ds_write_b64 v20, v[246:247] offset:36992                  // 00000001912C: D89A9080 0000F614
	ds_write_b64 v20, v[250:251] offset:41344                  // 000000019134: D89AA180 0000FA14
	s_waitcnt lgkmcnt(0)                                       // 00000001913C: BF8CC07F
	s_barrier                                                  // 000000019140: BF8A0000
	ds_read_b32 v174, v21                                      // 000000019144: D86C0000 AE000015
	ds_read_b32 v175, v21 offset:64                            // 00000001914C: D86C0040 AF000015
	ds_read_b32 v178, v21 offset:2176                          // 000000019154: D86C0880 B2000015
	ds_read_b32 v179, v21 offset:2240                          // 00000001915C: D86C08C0 B3000015
	ds_read_b32 v182, v21 offset:4352                          // 000000019164: D86C1100 B6000015
	ds_read_b32 v183, v21 offset:4416                          // 00000001916C: D86C1140 B7000015
	ds_read_b32 v186, v21 offset:6528                          // 000000019174: D86C1980 BA000015
	ds_read_b32 v187, v21 offset:6592                          // 00000001917C: D86C19C0 BB000015
	ds_read_b32 v190, v21 offset:8704                          // 000000019184: D86C2200 BE000015
	ds_read_b32 v191, v21 offset:8768                          // 00000001918C: D86C2240 BF000015
	ds_read_b32 v194, v21 offset:10880                         // 000000019194: D86C2A80 C2000015
	ds_read_b32 v195, v21 offset:10944                         // 00000001919C: D86C2AC0 C3000015
	ds_read_b32 v198, v21 offset:13056                         // 0000000191A4: D86C3300 C6000015
	ds_read_b32 v199, v21 offset:13120                         // 0000000191AC: D86C3340 C7000015
	ds_read_b32 v202, v21 offset:15232                         // 0000000191B4: D86C3B80 CA000015
	ds_read_b32 v203, v21 offset:15296                         // 0000000191BC: D86C3BC0 CB000015
	ds_read_b32 v206, v21 offset:17408                         // 0000000191C4: D86C4400 CE000015
	ds_read_b32 v207, v21 offset:17472                         // 0000000191CC: D86C4440 CF000015
	ds_read_b32 v210, v21 offset:19584                         // 0000000191D4: D86C4C80 D2000015
	ds_read_b32 v211, v21 offset:19648                         // 0000000191DC: D86C4CC0 D3000015
	ds_read_b32 v214, v21 offset:21760                         // 0000000191E4: D86C5500 D6000015
	ds_read_b32 v215, v21 offset:21824                         // 0000000191EC: D86C5540 D7000015
	ds_read_b32 v218, v21 offset:23936                         // 0000000191F4: D86C5D80 DA000015
	ds_read_b32 v219, v21 offset:24000                         // 0000000191FC: D86C5DC0 DB000015
	ds_read_b32 v222, v21 offset:26112                         // 000000019204: D86C6600 DE000015
	ds_read_b32 v223, v21 offset:26176                         // 00000001920C: D86C6640 DF000015
	ds_read_b32 v226, v21 offset:28288                         // 000000019214: D86C6E80 E2000015
	ds_read_b32 v227, v21 offset:28352                         // 00000001921C: D86C6EC0 E3000015
	ds_read_b32 v230, v21 offset:30464                         // 000000019224: D86C7700 E6000015
	ds_read_b32 v231, v21 offset:30528                         // 00000001922C: D86C7740 E7000015
	ds_read_b32 v234, v21 offset:32640                         // 000000019234: D86C7F80 EA000015
	ds_read_b32 v235, v21 offset:32704                         // 00000001923C: D86C7FC0 EB000015
	ds_read_b32 v238, v21 offset:34816                         // 000000019244: D86C8800 EE000015
	ds_read_b32 v239, v21 offset:34880                         // 00000001924C: D86C8840 EF000015
	ds_read_b32 v242, v21 offset:36992                         // 000000019254: D86C9080 F2000015
	ds_read_b32 v243, v21 offset:37056                         // 00000001925C: D86C90C0 F3000015
	ds_read_b32 v246, v21 offset:39168                         // 000000019264: D86C9900 F6000015
	ds_read_b32 v247, v21 offset:39232                         // 00000001926C: D86C9940 F7000015
	ds_read_b32 v250, v21 offset:41344                         // 000000019274: D86CA180 FA000015
	ds_read_b32 v251, v21 offset:41408                         // 00000001927C: D86CA1C0 FB000015
	s_waitcnt lgkmcnt(0)                                       // 000000019284: BF8CC07F
	v_mov_b32_e32 v7, 0                                        // 000000019288: 7E0E0280
	s_mov_b64 exec, s[36:37]                                   // 00000001928C: BEFE0124
	v_mov_b32_e32 v6, v70                                      // 000000019290: 7E0C0346
	s_mov_b64 s[60:61], 0                                      // 000000019294: BEBC0180
	v_readlane_b32 s82, v3, 0                                  // 000000019298: D2890052 00010103
	s_and_b32 s82, s82, 0xffffff                               // 0000000192A0: 8652FF52 00FFFFFF
	s_cmp_lt_u32 s82, s66                                      // 0000000192A8: BF0A4252
	s_cselect_b32 s20, s36, s60                                // 0000000192AC: 85143C24
	v_readlane_b32 s82, v3, 1                                  // 0000000192B0: D2890052 00010303
	s_and_b32 s82, s82, 0xffffff                               // 0000000192B8: 8652FF52 00FFFFFF
	s_cmp_lt_u32 s82, s66                                      // 0000000192C0: BF0A4252
	s_cselect_b32 s21, s36, s60                                // 0000000192C4: 85153C24
	s_mov_b64 exec, s[20:21]                                   // 0000000192C8: BEFE0114
	global_atomic_add_f32 v6, v174, s[8:9] offset:8            // 0000000192CC: DD348008 0008AE06
	global_atomic_add_f32 v6, v178, s[8:9] offset:264          // 0000000192D4: DD348108 0008B206
	s_mov_b64 exec, s[36:37]                                   // 0000000192DC: BEFE0124
	v_mov_b32_e32 v6, v71                                      // 0000000192E0: 7E0C0347
	s_mov_b64 s[60:61], 0                                      // 0000000192E4: BEBC0180
	v_readlane_b32 s82, v3, 2                                  // 0000000192E8: D2890052 00010503
	s_and_b32 s82, s82, 0xffffff                               // 0000000192F0: 8652FF52 00FFFFFF
	s_cmp_lt_u32 s82, s66                                      // 0000000192F8: BF0A4252
	s_cselect_b32 s20, s36, s60                                // 0000000192FC: 85143C24
	v_readlane_b32 s82, v3, 3                                  // 000000019300: D2890052 00010703
	s_and_b32 s82, s82, 0xffffff                               // 000000019308: 8652FF52 00FFFFFF
	s_cmp_lt_u32 s82, s66                                      // 000000019310: BF0A4252
	s_cselect_b32 s21, s36, s60                                // 000000019314: 85153C24
	s_mov_b64 exec, s[20:21]                                   // 000000019318: BEFE0114
	global_atomic_add_f32 v6, v175, s[8:9] offset:8            // 00000001931C: DD348008 0008AF06
	global_atomic_add_f32 v6, v179, s[8:9] offset:264          // 000000019324: DD348108 0008B306
	s_mov_b64 exec, s[36:37]                                   // 00000001932C: BEFE0124
	v_mov_b32_e32 v6, v72                                      // 000000019330: 7E0C0348
	s_mov_b64 s[60:61], 0                                      // 000000019334: BEBC0180
	v_readlane_b32 s82, v3, 4                                  // 000000019338: D2890052 00010903
	s_and_b32 s82, s82, 0xffffff                               // 000000019340: 8652FF52 00FFFFFF
	s_cmp_lt_u32 s82, s66                                      // 000000019348: BF0A4252
	s_cselect_b32 s20, s36, s60                                // 00000001934C: 85143C24
	v_readlane_b32 s82, v3, 5                                  // 000000019350: D2890052 00010B03
	s_and_b32 s82, s82, 0xffffff                               // 000000019358: 8652FF52 00FFFFFF
	s_cmp_lt_u32 s82, s66                                      // 000000019360: BF0A4252
	s_cselect_b32 s21, s36, s60                                // 000000019364: 85153C24
	s_mov_b64 exec, s[20:21]                                   // 000000019368: BEFE0114
	global_atomic_add_f32 v6, v182, s[8:9] offset:8            // 00000001936C: DD348008 0008B606
	global_atomic_add_f32 v6, v186, s[8:9] offset:264          // 000000019374: DD348108 0008BA06
	s_mov_b64 exec, s[36:37]                                   // 00000001937C: BEFE0124
	v_mov_b32_e32 v6, v73                                      // 000000019380: 7E0C0349
	s_mov_b64 s[60:61], 0                                      // 000000019384: BEBC0180
	v_readlane_b32 s82, v3, 6                                  // 000000019388: D2890052 00010D03
	s_and_b32 s82, s82, 0xffffff                               // 000000019390: 8652FF52 00FFFFFF
	s_cmp_lt_u32 s82, s66                                      // 000000019398: BF0A4252
	s_cselect_b32 s20, s36, s60                                // 00000001939C: 85143C24
	v_readlane_b32 s82, v3, 7                                  // 0000000193A0: D2890052 00010F03
	s_and_b32 s82, s82, 0xffffff                               // 0000000193A8: 8652FF52 00FFFFFF
	s_cmp_lt_u32 s82, s66                                      // 0000000193B0: BF0A4252
	s_cselect_b32 s21, s36, s60                                // 0000000193B4: 85153C24
	s_mov_b64 exec, s[20:21]                                   // 0000000193B8: BEFE0114
	global_atomic_add_f32 v6, v183, s[8:9] offset:8            // 0000000193BC: DD348008 0008B706
	global_atomic_add_f32 v6, v187, s[8:9] offset:264          // 0000000193C4: DD348108 0008BB06
	s_mov_b64 exec, s[36:37]                                   // 0000000193CC: BEFE0124
	v_mov_b32_e32 v6, v74                                      // 0000000193D0: 7E0C034A
	s_mov_b64 s[60:61], 0                                      // 0000000193D4: BEBC0180
	v_readlane_b32 s82, v3, 8                                  // 0000000193D8: D2890052 00011103
	s_and_b32 s82, s82, 0xffffff                               // 0000000193E0: 8652FF52 00FFFFFF
	s_cmp_lt_u32 s82, s66                                      // 0000000193E8: BF0A4252
	s_cselect_b32 s20, s36, s60                                // 0000000193EC: 85143C24
	v_readlane_b32 s82, v3, 9                                  // 0000000193F0: D2890052 00011303
	s_and_b32 s82, s82, 0xffffff                               // 0000000193F8: 8652FF52 00FFFFFF
	s_cmp_lt_u32 s82, s66                                      // 000000019400: BF0A4252
	s_cselect_b32 s21, s36, s60                                // 000000019404: 85153C24
	s_mov_b64 exec, s[20:21]                                   // 000000019408: BEFE0114
	global_atomic_add_f32 v6, v190, s[8:9] offset:8            // 00000001940C: DD348008 0008BE06
	global_atomic_add_f32 v6, v194, s[8:9] offset:264          // 000000019414: DD348108 0008C206
	s_mov_b64 exec, s[36:37]                                   // 00000001941C: BEFE0124
	v_mov_b32_e32 v6, v75                                      // 000000019420: 7E0C034B
	s_mov_b64 s[60:61], 0                                      // 000000019424: BEBC0180
	v_readlane_b32 s82, v3, 10                                 // 000000019428: D2890052 00011503
	s_and_b32 s82, s82, 0xffffff                               // 000000019430: 8652FF52 00FFFFFF
	s_cmp_lt_u32 s82, s66                                      // 000000019438: BF0A4252
	s_cselect_b32 s20, s36, s60                                // 00000001943C: 85143C24
	v_readlane_b32 s82, v3, 11                                 // 000000019440: D2890052 00011703
	s_and_b32 s82, s82, 0xffffff                               // 000000019448: 8652FF52 00FFFFFF
	s_cmp_lt_u32 s82, s66                                      // 000000019450: BF0A4252
	s_cselect_b32 s21, s36, s60                                // 000000019454: 85153C24
	s_mov_b64 exec, s[20:21]                                   // 000000019458: BEFE0114
	global_atomic_add_f32 v6, v191, s[8:9] offset:8            // 00000001945C: DD348008 0008BF06
	global_atomic_add_f32 v6, v195, s[8:9] offset:264          // 000000019464: DD348108 0008C306
	s_mov_b64 exec, s[36:37]                                   // 00000001946C: BEFE0124
	v_mov_b32_e32 v6, v76                                      // 000000019470: 7E0C034C
	s_mov_b64 s[60:61], 0                                      // 000000019474: BEBC0180
	v_readlane_b32 s82, v3, 12                                 // 000000019478: D2890052 00011903
	s_and_b32 s82, s82, 0xffffff                               // 000000019480: 8652FF52 00FFFFFF
	s_cmp_lt_u32 s82, s66                                      // 000000019488: BF0A4252
	s_cselect_b32 s20, s36, s60                                // 00000001948C: 85143C24
	v_readlane_b32 s82, v3, 13                                 // 000000019490: D2890052 00011B03
	s_and_b32 s82, s82, 0xffffff                               // 000000019498: 8652FF52 00FFFFFF
	s_cmp_lt_u32 s82, s66                                      // 0000000194A0: BF0A4252
	s_cselect_b32 s21, s36, s60                                // 0000000194A4: 85153C24
	s_mov_b64 exec, s[20:21]                                   // 0000000194A8: BEFE0114
	global_atomic_add_f32 v6, v198, s[8:9] offset:8            // 0000000194AC: DD348008 0008C606
	global_atomic_add_f32 v6, v202, s[8:9] offset:264          // 0000000194B4: DD348108 0008CA06
	s_mov_b64 exec, s[36:37]                                   // 0000000194BC: BEFE0124
	v_mov_b32_e32 v6, v77                                      // 0000000194C0: 7E0C034D
	s_mov_b64 s[60:61], 0                                      // 0000000194C4: BEBC0180
	v_readlane_b32 s82, v3, 14                                 // 0000000194C8: D2890052 00011D03
	s_and_b32 s82, s82, 0xffffff                               // 0000000194D0: 8652FF52 00FFFFFF
	s_cmp_lt_u32 s82, s66                                      // 0000000194D8: BF0A4252
	s_cselect_b32 s20, s36, s60                                // 0000000194DC: 85143C24
	v_readlane_b32 s82, v3, 15                                 // 0000000194E0: D2890052 00011F03
	s_and_b32 s82, s82, 0xffffff                               // 0000000194E8: 8652FF52 00FFFFFF
	s_cmp_lt_u32 s82, s66                                      // 0000000194F0: BF0A4252
	s_cselect_b32 s21, s36, s60                                // 0000000194F4: 85153C24
	s_mov_b64 exec, s[20:21]                                   // 0000000194F8: BEFE0114
	global_atomic_add_f32 v6, v199, s[8:9] offset:8            // 0000000194FC: DD348008 0008C706
	global_atomic_add_f32 v6, v203, s[8:9] offset:264          // 000000019504: DD348108 0008CB06
	s_mov_b64 exec, s[36:37]                                   // 00000001950C: BEFE0124
	v_mov_b32_e32 v6, v78                                      // 000000019510: 7E0C034E
	s_mov_b64 s[60:61], 0                                      // 000000019514: BEBC0180
	v_readlane_b32 s82, v3, 16                                 // 000000019518: D2890052 00012103
	s_and_b32 s82, s82, 0xffffff                               // 000000019520: 8652FF52 00FFFFFF
	s_cmp_lt_u32 s82, s66                                      // 000000019528: BF0A4252
	s_cselect_b32 s20, s36, s60                                // 00000001952C: 85143C24
	v_readlane_b32 s82, v3, 17                                 // 000000019530: D2890052 00012303
	s_and_b32 s82, s82, 0xffffff                               // 000000019538: 8652FF52 00FFFFFF
	s_cmp_lt_u32 s82, s66                                      // 000000019540: BF0A4252
	s_cselect_b32 s21, s36, s60                                // 000000019544: 85153C24
	s_mov_b64 exec, s[20:21]                                   // 000000019548: BEFE0114
	global_atomic_add_f32 v6, v206, s[8:9] offset:8            // 00000001954C: DD348008 0008CE06
	global_atomic_add_f32 v6, v210, s[8:9] offset:264          // 000000019554: DD348108 0008D206
	s_mov_b64 exec, s[36:37]                                   // 00000001955C: BEFE0124
	v_mov_b32_e32 v6, v79                                      // 000000019560: 7E0C034F
	s_mov_b64 s[60:61], 0                                      // 000000019564: BEBC0180
	v_readlane_b32 s82, v3, 18                                 // 000000019568: D2890052 00012503
	s_and_b32 s82, s82, 0xffffff                               // 000000019570: 8652FF52 00FFFFFF
	s_cmp_lt_u32 s82, s66                                      // 000000019578: BF0A4252
	s_cselect_b32 s20, s36, s60                                // 00000001957C: 85143C24
	v_readlane_b32 s82, v3, 19                                 // 000000019580: D2890052 00012703
	s_and_b32 s82, s82, 0xffffff                               // 000000019588: 8652FF52 00FFFFFF
	s_cmp_lt_u32 s82, s66                                      // 000000019590: BF0A4252
	s_cselect_b32 s21, s36, s60                                // 000000019594: 85153C24
	s_mov_b64 exec, s[20:21]                                   // 000000019598: BEFE0114
	global_atomic_add_f32 v6, v207, s[8:9] offset:8            // 00000001959C: DD348008 0008CF06
	global_atomic_add_f32 v6, v211, s[8:9] offset:264          // 0000000195A4: DD348108 0008D306
	s_mov_b64 exec, s[36:37]                                   // 0000000195AC: BEFE0124
	v_mov_b32_e32 v6, v80                                      // 0000000195B0: 7E0C0350
	s_mov_b64 s[60:61], 0                                      // 0000000195B4: BEBC0180
	v_readlane_b32 s82, v3, 20                                 // 0000000195B8: D2890052 00012903
	s_and_b32 s82, s82, 0xffffff                               // 0000000195C0: 8652FF52 00FFFFFF
	s_cmp_lt_u32 s82, s66                                      // 0000000195C8: BF0A4252
	s_cselect_b32 s20, s36, s60                                // 0000000195CC: 85143C24
	v_readlane_b32 s82, v3, 21                                 // 0000000195D0: D2890052 00012B03
	s_and_b32 s82, s82, 0xffffff                               // 0000000195D8: 8652FF52 00FFFFFF
	s_cmp_lt_u32 s82, s66                                      // 0000000195E0: BF0A4252
	s_cselect_b32 s21, s36, s60                                // 0000000195E4: 85153C24
	s_mov_b64 exec, s[20:21]                                   // 0000000195E8: BEFE0114
	global_atomic_add_f32 v6, v214, s[8:9] offset:8            // 0000000195EC: DD348008 0008D606
	global_atomic_add_f32 v6, v218, s[8:9] offset:264          // 0000000195F4: DD348108 0008DA06
	s_mov_b64 exec, s[36:37]                                   // 0000000195FC: BEFE0124
	v_mov_b32_e32 v6, v81                                      // 000000019600: 7E0C0351
	s_mov_b64 s[60:61], 0                                      // 000000019604: BEBC0180
	v_readlane_b32 s82, v3, 22                                 // 000000019608: D2890052 00012D03
	s_and_b32 s82, s82, 0xffffff                               // 000000019610: 8652FF52 00FFFFFF
	s_cmp_lt_u32 s82, s66                                      // 000000019618: BF0A4252
	s_cselect_b32 s20, s36, s60                                // 00000001961C: 85143C24
	v_readlane_b32 s82, v3, 23                                 // 000000019620: D2890052 00012F03
	s_and_b32 s82, s82, 0xffffff                               // 000000019628: 8652FF52 00FFFFFF
	s_cmp_lt_u32 s82, s66                                      // 000000019630: BF0A4252
	s_cselect_b32 s21, s36, s60                                // 000000019634: 85153C24
	s_mov_b64 exec, s[20:21]                                   // 000000019638: BEFE0114
	global_atomic_add_f32 v6, v215, s[8:9] offset:8            // 00000001963C: DD348008 0008D706
	global_atomic_add_f32 v6, v219, s[8:9] offset:264          // 000000019644: DD348108 0008DB06
	s_mov_b64 exec, s[36:37]                                   // 00000001964C: BEFE0124
	v_mov_b32_e32 v6, v82                                      // 000000019650: 7E0C0352
	s_mov_b64 s[60:61], 0                                      // 000000019654: BEBC0180
	v_readlane_b32 s82, v3, 24                                 // 000000019658: D2890052 00013103
	s_and_b32 s82, s82, 0xffffff                               // 000000019660: 8652FF52 00FFFFFF
	s_cmp_lt_u32 s82, s66                                      // 000000019668: BF0A4252
	s_cselect_b32 s20, s36, s60                                // 00000001966C: 85143C24
	v_readlane_b32 s82, v3, 25                                 // 000000019670: D2890052 00013303
	s_and_b32 s82, s82, 0xffffff                               // 000000019678: 8652FF52 00FFFFFF
	s_cmp_lt_u32 s82, s66                                      // 000000019680: BF0A4252
	s_cselect_b32 s21, s36, s60                                // 000000019684: 85153C24
	s_mov_b64 exec, s[20:21]                                   // 000000019688: BEFE0114
	global_atomic_add_f32 v6, v222, s[8:9] offset:8            // 00000001968C: DD348008 0008DE06
	global_atomic_add_f32 v6, v226, s[8:9] offset:264          // 000000019694: DD348108 0008E206
	s_mov_b64 exec, s[36:37]                                   // 00000001969C: BEFE0124
	v_mov_b32_e32 v6, v83                                      // 0000000196A0: 7E0C0353
	s_mov_b64 s[60:61], 0                                      // 0000000196A4: BEBC0180
	v_readlane_b32 s82, v3, 26                                 // 0000000196A8: D2890052 00013503
	s_and_b32 s82, s82, 0xffffff                               // 0000000196B0: 8652FF52 00FFFFFF
	s_cmp_lt_u32 s82, s66                                      // 0000000196B8: BF0A4252
	s_cselect_b32 s20, s36, s60                                // 0000000196BC: 85143C24
	v_readlane_b32 s82, v3, 27                                 // 0000000196C0: D2890052 00013703
	s_and_b32 s82, s82, 0xffffff                               // 0000000196C8: 8652FF52 00FFFFFF
	s_cmp_lt_u32 s82, s66                                      // 0000000196D0: BF0A4252
	s_cselect_b32 s21, s36, s60                                // 0000000196D4: 85153C24
	s_mov_b64 exec, s[20:21]                                   // 0000000196D8: BEFE0114
	global_atomic_add_f32 v6, v223, s[8:9] offset:8            // 0000000196DC: DD348008 0008DF06
	global_atomic_add_f32 v6, v227, s[8:9] offset:264          // 0000000196E4: DD348108 0008E306
	s_mov_b64 exec, s[36:37]                                   // 0000000196EC: BEFE0124
	v_mov_b32_e32 v6, v84                                      // 0000000196F0: 7E0C0354
	s_mov_b64 s[60:61], 0                                      // 0000000196F4: BEBC0180
	v_readlane_b32 s82, v3, 28                                 // 0000000196F8: D2890052 00013903
	s_and_b32 s82, s82, 0xffffff                               // 000000019700: 8652FF52 00FFFFFF
	s_cmp_lt_u32 s82, s66                                      // 000000019708: BF0A4252
	s_cselect_b32 s20, s36, s60                                // 00000001970C: 85143C24
	v_readlane_b32 s82, v3, 29                                 // 000000019710: D2890052 00013B03
	s_and_b32 s82, s82, 0xffffff                               // 000000019718: 8652FF52 00FFFFFF
	s_cmp_lt_u32 s82, s66                                      // 000000019720: BF0A4252
	s_cselect_b32 s21, s36, s60                                // 000000019724: 85153C24
	s_mov_b64 exec, s[20:21]                                   // 000000019728: BEFE0114
	global_atomic_add_f32 v6, v230, s[8:9] offset:8            // 00000001972C: DD348008 0008E606
	global_atomic_add_f32 v6, v234, s[8:9] offset:264          // 000000019734: DD348108 0008EA06
	s_mov_b64 exec, s[36:37]                                   // 00000001973C: BEFE0124
	v_mov_b32_e32 v6, v85                                      // 000000019740: 7E0C0355
	s_mov_b64 s[60:61], 0                                      // 000000019744: BEBC0180
	v_readlane_b32 s82, v3, 30                                 // 000000019748: D2890052 00013D03
	s_and_b32 s82, s82, 0xffffff                               // 000000019750: 8652FF52 00FFFFFF
	s_cmp_lt_u32 s82, s66                                      // 000000019758: BF0A4252
	s_cselect_b32 s20, s36, s60                                // 00000001975C: 85143C24
	v_readlane_b32 s82, v3, 31                                 // 000000019760: D2890052 00013F03
	s_and_b32 s82, s82, 0xffffff                               // 000000019768: 8652FF52 00FFFFFF
	s_cmp_lt_u32 s82, s66                                      // 000000019770: BF0A4252
	s_cselect_b32 s21, s36, s60                                // 000000019774: 85153C24
	s_mov_b64 exec, s[20:21]                                   // 000000019778: BEFE0114
	global_atomic_add_f32 v6, v231, s[8:9] offset:8            // 00000001977C: DD348008 0008E706
	global_atomic_add_f32 v6, v235, s[8:9] offset:264          // 000000019784: DD348108 0008EB06
	s_mov_b64 exec, s[36:37]                                   // 00000001978C: BEFE0124
	v_mov_b32_e32 v6, v86                                      // 000000019790: 7E0C0356
	s_mov_b64 s[60:61], 0                                      // 000000019794: BEBC0180
	v_readlane_b32 s82, v3, 32                                 // 000000019798: D2890052 00014103
	s_and_b32 s82, s82, 0xffffff                               // 0000000197A0: 8652FF52 00FFFFFF
	s_cmp_lt_u32 s82, s66                                      // 0000000197A8: BF0A4252
	s_cselect_b32 s20, s36, s60                                // 0000000197AC: 85143C24
	v_readlane_b32 s82, v3, 33                                 // 0000000197B0: D2890052 00014303
	s_and_b32 s82, s82, 0xffffff                               // 0000000197B8: 8652FF52 00FFFFFF
	s_cmp_lt_u32 s82, s66                                      // 0000000197C0: BF0A4252
	s_cselect_b32 s21, s36, s60                                // 0000000197C4: 85153C24
	s_mov_b64 exec, s[20:21]                                   // 0000000197C8: BEFE0114
	global_atomic_add_f32 v6, v238, s[8:9] offset:8            // 0000000197CC: DD348008 0008EE06
	global_atomic_add_f32 v6, v242, s[8:9] offset:264          // 0000000197D4: DD348108 0008F206
	s_mov_b64 exec, s[36:37]                                   // 0000000197DC: BEFE0124
	v_mov_b32_e32 v6, v87                                      // 0000000197E0: 7E0C0357
	s_mov_b64 s[60:61], 0                                      // 0000000197E4: BEBC0180
	v_readlane_b32 s82, v3, 34                                 // 0000000197E8: D2890052 00014503
	s_and_b32 s82, s82, 0xffffff                               // 0000000197F0: 8652FF52 00FFFFFF
	s_cmp_lt_u32 s82, s66                                      // 0000000197F8: BF0A4252
	s_cselect_b32 s20, s36, s60                                // 0000000197FC: 85143C24
	v_readlane_b32 s82, v3, 35                                 // 000000019800: D2890052 00014703
	s_and_b32 s82, s82, 0xffffff                               // 000000019808: 8652FF52 00FFFFFF
	s_cmp_lt_u32 s82, s66                                      // 000000019810: BF0A4252
	s_cselect_b32 s21, s36, s60                                // 000000019814: 85153C24
	s_mov_b64 exec, s[20:21]                                   // 000000019818: BEFE0114
	global_atomic_add_f32 v6, v239, s[8:9] offset:8            // 00000001981C: DD348008 0008EF06
	global_atomic_add_f32 v6, v243, s[8:9] offset:264          // 000000019824: DD348108 0008F306
	s_mov_b64 exec, s[36:37]                                   // 00000001982C: BEFE0124
	v_mov_b32_e32 v6, v88                                      // 000000019830: 7E0C0358
	s_mov_b64 s[60:61], 0                                      // 000000019834: BEBC0180
	v_readlane_b32 s82, v3, 36                                 // 000000019838: D2890052 00014903
	s_and_b32 s82, s82, 0xffffff                               // 000000019840: 8652FF52 00FFFFFF
	s_cmp_lt_u32 s82, s66                                      // 000000019848: BF0A4252
	s_cselect_b32 s20, s36, s60                                // 00000001984C: 85143C24
	v_readlane_b32 s82, v3, 37                                 // 000000019850: D2890052 00014B03
	s_and_b32 s82, s82, 0xffffff                               // 000000019858: 8652FF52 00FFFFFF
	s_cmp_lt_u32 s82, s66                                      // 000000019860: BF0A4252
	s_cselect_b32 s21, s36, s60                                // 000000019864: 85153C24
	s_mov_b64 exec, s[20:21]                                   // 000000019868: BEFE0114
	global_atomic_add_f32 v6, v246, s[8:9] offset:8            // 00000001986C: DD348008 0008F606
	global_atomic_add_f32 v6, v250, s[8:9] offset:264          // 000000019874: DD348108 0008FA06
	s_mov_b64 exec, s[36:37]                                   // 00000001987C: BEFE0124
	v_mov_b32_e32 v6, v89                                      // 000000019880: 7E0C0359
	s_mov_b64 s[60:61], 0                                      // 000000019884: BEBC0180
	v_readlane_b32 s82, v3, 38                                 // 000000019888: D2890052 00014D03
	s_and_b32 s82, s82, 0xffffff                               // 000000019890: 8652FF52 00FFFFFF
	s_cmp_lt_u32 s82, s66                                      // 000000019898: BF0A4252
	s_cselect_b32 s20, s36, s60                                // 00000001989C: 85143C24
	v_readlane_b32 s82, v3, 39                                 // 0000000198A0: D2890052 00014F03
	s_and_b32 s82, s82, 0xffffff                               // 0000000198A8: 8652FF52 00FFFFFF
	s_cmp_lt_u32 s82, s66                                      // 0000000198B0: BF0A4252
	s_cselect_b32 s21, s36, s60                                // 0000000198B4: 85153C24
	s_mov_b64 exec, s[20:21]                                   // 0000000198B8: BEFE0114
	global_atomic_add_f32 v6, v247, s[8:9] offset:8            // 0000000198BC: DD348008 0008F706
	global_atomic_add_f32 v6, v251, s[8:9] offset:264          // 0000000198C4: DD348108 0008FB06
	s_mov_b64 exec, s[36:37]                                   // 0000000198CC: BEFE0124
	s_branch label_5BB8                                        // 0000000198D0: BF820000

00000000000198d4 <label_5BB8>:
	s_waitcnt vmcnt(0) expcnt(0) lgkmcnt(0)                    // 0000000198D4: BF8C0000
	s_endpgm                                                   // 0000000198D8: BF810000
